;; amdgpu-corpus repo=ROCm/rocFFT kind=compiled arch=gfx950 opt=O3
	.text
	.amdgcn_target "amdgcn-amd-amdhsa--gfx950"
	.amdhsa_code_object_version 6
	.protected	bluestein_single_back_len187_dim1_sp_op_CI_CI ; -- Begin function bluestein_single_back_len187_dim1_sp_op_CI_CI
	.globl	bluestein_single_back_len187_dim1_sp_op_CI_CI
	.p2align	8
	.type	bluestein_single_back_len187_dim1_sp_op_CI_CI,@function
bluestein_single_back_len187_dim1_sp_op_CI_CI: ; @bluestein_single_back_len187_dim1_sp_op_CI_CI
; %bb.0:
	s_load_dwordx4 s[8:11], s[0:1], 0x28
	v_mul_u32_u24_e32 v1, 0xf10, v0
	v_lshrrev_b32_e32 v2, 16, v1
	v_mad_u64_u32 v[182:183], s[2:3], s2, 7, v[2:3]
	v_mov_b32_e32 v183, 0
	s_waitcnt lgkmcnt(0)
	v_cmp_gt_u64_e32 vcc, s[8:9], v[182:183]
	s_and_saveexec_b64 s[2:3], vcc
	s_cbranch_execz .LBB0_15
; %bb.1:
	v_mul_lo_u16_e32 v1, 17, v2
	s_mov_b32 s2, 0x24924925
	v_sub_u16_e32 v176, v0, v1
	v_mul_hi_u32 v0, v182, s2
	v_sub_u32_e32 v1, v182, v0
	v_lshrrev_b32_e32 v1, 1, v1
	v_add_u32_e32 v0, v1, v0
	s_load_dwordx2 s[8:9], s[0:1], 0x0
	s_load_dwordx2 s[12:13], s[0:1], 0x38
	v_lshrrev_b32_e32 v0, 2, v0
	v_mul_lo_u32 v0, v0, 7
	v_sub_u32_e32 v0, v182, v0
	v_mul_u32_u24_e32 v52, 0xbb, v0
	v_cmp_gt_u16_e32 vcc, 11, v176
	v_lshlrev_b32_e32 v177, 3, v176
	v_lshlrev_b32_e32 v183, 3, v52
	s_and_saveexec_b64 s[2:3], vcc
	s_cbranch_execz .LBB0_3
; %bb.2:
	s_load_dwordx2 s[4:5], s[0:1], 0x18
	v_mov_b32_e32 v0, s10
	v_mov_b32_e32 v1, s11
	;; [unrolled: 1-line block ×4, first 2 shown]
	s_waitcnt lgkmcnt(0)
	s_load_dwordx4 s[4:7], s[4:5], 0x0
	s_waitcnt lgkmcnt(0)
	v_mad_u64_u32 v[2:3], s[10:11], s6, v182, 0
	v_mad_u64_u32 v[4:5], s[10:11], s4, v176, 0
	v_mov_b32_e32 v6, v3
	v_mov_b32_e32 v8, v5
	v_mad_u64_u32 v[6:7], s[6:7], s7, v182, v[6:7]
	v_mov_b32_e32 v3, v6
	v_mad_u64_u32 v[6:7], s[6:7], s5, v176, v[8:9]
	v_mov_b32_e32 v5, v6
	v_lshl_add_u64 v[2:3], v[2:3], 3, v[0:1]
	v_lshl_add_u64 v[4:5], v[4:5], 3, v[2:3]
	v_mad_u64_u32 v[24:25], s[6:7], s4, v52, v[4:5]
	s_mul_i32 s6, s5, 0x58
	s_nop 0
	v_add_u32_e32 v25, s6, v25
	v_mad_u64_u32 v[26:27], s[10:11], s4, v52, v[24:25]
	v_add_u32_e32 v27, s6, v27
	v_mad_u64_u32 v[28:29], s[10:11], s4, v52, v[26:27]
	v_add_u32_e32 v29, s6, v29
	v_mad_u64_u32 v[30:31], s[10:11], s4, v52, v[28:29]
	v_add_u32_e32 v31, s6, v31
	global_load_dwordx2 v[0:1], v[4:5], off
	global_load_dwordx2 v[10:11], v177, s[8:9]
	global_load_dwordx2 v[8:9], v177, s[8:9] offset:88
	global_load_dwordx2 v[6:7], v177, s[8:9] offset:176
	s_nop 0
	global_load_dwordx2 v[4:5], v177, s[8:9] offset:264
	global_load_dwordx2 v[20:21], v[24:25], off
	global_load_dwordx2 v[18:19], v[26:27], off
	global_load_dwordx2 v[14:15], v[28:29], off
	global_load_dwordx2 v[12:13], v[30:31], off
	global_load_dwordx2 v[16:17], v177, s[8:9] offset:352
	global_load_dwordx2 v[22:23], v177, s[8:9] offset:440
	;; [unrolled: 1-line block ×4, first 2 shown]
	v_mad_u64_u32 v[28:29], s[10:11], s4, v52, v[30:31]
	v_add_u32_e32 v29, s6, v29
	global_load_dwordx2 v[30:31], v[28:29], off
	v_mad_u64_u32 v[28:29], s[10:11], s4, v52, v[28:29]
	v_add_u32_e32 v29, s6, v29
	global_load_dwordx2 v[36:37], v[28:29], off
	;; [unrolled: 3-line block ×4, first 2 shown]
	v_mad_u64_u32 v[28:29], s[10:11], s4, v52, v[28:29]
	v_add_u32_e32 v29, s6, v29
	global_load_dwordx2 v[42:43], v177, s[8:9] offset:704
	global_load_dwordx2 v[44:45], v[28:29], off
	v_mad_u64_u32 v[28:29], s[10:11], s4, v52, v[28:29]
	v_add_u32_e32 v29, s6, v29
	global_load_dwordx2 v[46:47], v177, s[8:9] offset:792
	global_load_dwordx2 v[48:49], v[28:29], off
	;; [unrolled: 4-line block ×3, first 2 shown]
	global_load_dwordx2 v[56:57], v177, s[8:9] offset:968
	v_mad_u64_u32 v[28:29], s[10:11], s4, v52, v[28:29]
	v_add_u32_e32 v29, s6, v29
	v_or_b32_e32 v27, 0xb0, v176
	global_load_dwordx2 v[58:59], v[28:29], off
	global_load_dwordx2 v[60:61], v177, s[8:9] offset:1056
	v_mad_u64_u32 v[28:29], s[10:11], s4, v52, v[28:29]
	v_mad_u64_u32 v[24:25], s[10:11], s4, v27, 0
	v_add_u32_e32 v29, s6, v29
	v_mov_b32_e32 v26, v25
	global_load_dwordx2 v[62:63], v[28:29], off
	global_load_dwordx2 v[64:65], v177, s[8:9] offset:1144
	v_mad_u64_u32 v[28:29], s[10:11], s4, v52, v[28:29]
	v_mad_u64_u32 v[26:27], s[10:11], s5, v27, v[26:27]
	v_add_u32_e32 v29, s6, v29
	global_load_dwordx2 v[66:67], v[28:29], off
	global_load_dwordx2 v[68:69], v177, s[8:9] offset:1232
	v_mad_u64_u32 v[28:29], s[4:5], s4, v52, v[28:29]
	v_mov_b32_e32 v25, v26
	v_add_u32_e32 v29, s6, v29
	v_lshl_add_u64 v[2:3], v[24:25], 3, v[2:3]
	global_load_dwordx2 v[70:71], v[28:29], off
	global_load_dwordx2 v[72:73], v177, s[8:9] offset:1320
	global_load_dwordx2 v[24:25], v[2:3], off
	global_load_dwordx2 v[26:27], v177, s[8:9] offset:1408
	v_lshl_add_u32 v28, v176, 3, v183
	v_add_u32_e32 v29, v183, v177
	v_mov_b32_e32 v52, v53
	s_waitcnt vmcnt(32)
	v_mul_f32_e32 v2, v1, v11
	v_mul_f32_e32 v3, v0, v11
	v_fmac_f32_e32 v2, v0, v10
	v_fma_f32 v3, v1, v10, -v3
	ds_write_b64 v28, v[2:3]
	s_waitcnt vmcnt(28)
	v_mul_f32_e32 v0, v21, v9
	v_mul_f32_e32 v1, v20, v9
	s_waitcnt vmcnt(27)
	v_mul_f32_e32 v2, v19, v7
	v_mul_f32_e32 v3, v18, v7
	v_fmac_f32_e32 v0, v20, v8
	v_fma_f32 v1, v21, v8, -v1
	v_fmac_f32_e32 v2, v18, v6
	v_fma_f32 v3, v19, v6, -v3
	ds_write2_b64 v29, v[0:1], v[2:3] offset0:11 offset1:22
	s_waitcnt vmcnt(24)
	v_mul_f32_e32 v2, v12, v17
	v_mul_f32_e32 v0, v15, v5
	;; [unrolled: 1-line block ×3, first 2 shown]
	v_fma_f32 v3, v13, v16, -v2
	v_mul_f32_e32 v2, v13, v17
	v_fmac_f32_e32 v0, v14, v4
	v_fma_f32 v1, v15, v4, -v1
	v_fmac_f32_e32 v2, v12, v16
	ds_write2_b64 v29, v[0:1], v[2:3] offset0:33 offset1:44
	s_waitcnt vmcnt(20)
	v_mul_f32_e32 v0, v31, v23
	v_mul_f32_e32 v1, v30, v23
	s_waitcnt vmcnt(19)
	v_mul_f32_e32 v2, v37, v33
	v_mul_f32_e32 v3, v36, v33
	v_fmac_f32_e32 v0, v30, v22
	v_fma_f32 v1, v31, v22, -v1
	v_fmac_f32_e32 v2, v36, v32
	v_fma_f32 v3, v37, v32, -v3
	ds_write2_b64 v29, v[0:1], v[2:3] offset0:55 offset1:66
	s_waitcnt vmcnt(18)
	v_mul_f32_e32 v0, v39, v35
	v_mul_f32_e32 v1, v38, v35
	s_waitcnt vmcnt(16)
	v_mul_f32_e32 v2, v41, v43
	v_mul_f32_e32 v3, v40, v43
	v_fmac_f32_e32 v0, v38, v34
	v_fma_f32 v1, v39, v34, -v1
	v_fmac_f32_e32 v2, v40, v42
	v_fma_f32 v3, v41, v42, -v3
	;; [unrolled: 11-line block ×6, first 2 shown]
	ds_write2_b64 v29, v[0:1], v[2:3] offset0:165 offset1:176
.LBB0_3:
	s_or_b64 exec, exec, s[2:3]
	s_load_dwordx2 s[2:3], s[0:1], 0x20
	s_load_dwordx2 s[4:5], s[0:1], 0x8
	v_mov_b32_e32 v0, 0
	v_mov_b32_e32 v1, 0
	s_waitcnt lgkmcnt(0)
	s_barrier
	s_waitcnt lgkmcnt(0)
                                        ; implicit-def: $vgpr6
                                        ; implicit-def: $vgpr12
                                        ; implicit-def: $vgpr10
                                        ; implicit-def: $vgpr32
                                        ; implicit-def: $vgpr18
                                        ; implicit-def: $vgpr46
                                        ; implicit-def: $vgpr42
                                        ; implicit-def: $vgpr38
	s_and_saveexec_b64 s[0:1], vcc
	s_cbranch_execz .LBB0_5
; %bb.4:
	v_lshl_add_u32 v20, v52, 3, v177
	ds_read2_b64 v[0:3], v20 offset1:11
	ds_read2_b64 v[36:39], v20 offset0:22 offset1:33
	ds_read2_b64 v[16:19], v20 offset0:44 offset1:55
	;; [unrolled: 1-line block ×7, first 2 shown]
	ds_read_b64 v[46:47], v20 offset:1408
.LBB0_5:
	s_or_b64 exec, exec, s[0:1]
	s_mov_b32 s6, 0xbf2c7751
	s_waitcnt lgkmcnt(0)
	v_pk_add_f32 v[58:59], v[46:47], v[2:3]
	v_pk_add_f32 v[20:21], v[2:3], v[46:47] neg_lo:[0,1] neg_hi:[0,1]
	s_mov_b32 s7, 0x3f3d2fb0
	v_mov_b32_e32 v29, v59
	v_mov_b32_e32 v59, v20
	s_mov_b32 s0, s7
	s_mov_b32 s1, s6
	;; [unrolled: 1-line block ×3, first 2 shown]
	v_mov_b32_e32 v28, v21
	v_pk_add_f32 v[30:31], v[42:43], v[36:37]
	v_pk_add_f32 v[66:67], v[36:37], v[42:43] neg_lo:[0,1] neg_hi:[0,1]
	v_pk_mul_f32 v[20:21], v[58:59], s[0:1]
	s_mov_b32 s11, 0x3dbcf732
	s_mov_b32 s0, 0xbf65296c
	v_mov_b32_e32 v72, v30
	v_mov_b32_e32 v73, v66
	s_mov_b32 s34, s11
	s_mov_b32 s35, s10
	;; [unrolled: 1-line block ×3, first 2 shown]
	v_accvgpr_write_b32 a2, v20
	v_pk_mul_f32 v[22:23], v[72:73], s[34:35]
	s_mov_b32 s14, s1
	s_mov_b32 s15, s0
	v_pk_fma_f32 v[24:25], v[28:29], s[6:7], v[20:21]
	v_accvgpr_write_b32 a3, v21
	v_pk_fma_f32 v[20:21], v[28:29], s[6:7], v[20:21] neg_lo:[0,0,1] neg_hi:[0,0,1]
	v_mov_b32_e32 v44, v67
	v_mov_b32_e32 v45, v31
	v_accvgpr_write_b32 a6, v22
	v_pk_mul_f32 v[96:97], v[58:59], s[14:15]
	s_mov_b32 s14, 0xbf4c4adb
	v_pk_fma_f32 v[26:27], v[44:45], s[10:11], v[22:23]
	v_accvgpr_write_b32 a7, v23
	v_pk_fma_f32 v[22:23], v[44:45], s[10:11], v[22:23] neg_lo:[0,0,1] neg_hi:[0,0,1]
	v_mov_b32_e32 v20, v24
	s_mov_b32 s15, 0xbf1a4643
	v_pk_add_f32 v[20:21], v[20:21], v[0:1]
	v_mov_b32_e32 v22, v26
	s_mov_b32 s44, s15
	s_mov_b32 s45, s14
	v_accvgpr_write_b32 a1, v25
	v_pk_add_f32 v[20:21], v[22:23], v[20:21]
	v_pk_fma_f32 v[24:25], v[28:29], s[0:1], v[96:97]
	v_pk_fma_f32 v[22:23], v[28:29], s[0:1], v[96:97] neg_lo:[0,0,1] neg_hi:[0,0,1]
	v_pk_mul_f32 v[100:101], v[72:73], s[44:45]
	v_accvgpr_write_b32 a5, v27
	v_accvgpr_write_b32 a17, v25
	v_mov_b32_e32 v22, v24
	v_pk_fma_f32 v[26:27], v[44:45], s[14:15], v[100:101]
	v_pk_fma_f32 v[24:25], v[44:45], s[14:15], v[100:101] neg_lo:[0,0,1] neg_hi:[0,0,1]
	v_pk_add_f32 v[22:23], v[22:23], v[0:1]
	v_mov_b32_e32 v24, v26
	v_pk_add_f32 v[50:51], v[38:39], v[40:41] neg_lo:[0,1] neg_hi:[0,1]
	v_pk_add_f32 v[22:23], v[24:25], v[22:23]
	s_mov_b32 s42, s15
	v_pk_add_f32 v[48:49], v[40:41], v[38:39]
	v_pk_mul_f32 v[24:25], v[50:51], s[14:15] op_sel_hi:[1,0]
	v_accvgpr_write_b32 a15, v27
	v_pk_fma_f32 v[26:27], v[48:49], s[42:43], v[24:25] op_sel:[0,0,1] op_sel_hi:[1,0,0]
	v_pk_fma_f32 v[84:85], v[48:49], s[42:43], v[24:25] op_sel:[0,0,1] op_sel_hi:[1,0,0] neg_lo:[0,0,1] neg_hi:[0,0,1]
	s_mov_b32 s16, 0xbe3c28d5
	v_mov_b32_e32 v24, v26
	v_mov_b32_e32 v25, v85
	s_mov_b32 s17, 0xbf7ba420
	s_mov_b32 s18, 0x3e3c28d5
	v_pk_add_f32 v[20:21], v[24:25], v[20:21]
	s_mov_b32 s36, s17
	v_pk_mul_f32 v[24:25], v[50:51], s[18:19] op_sel_hi:[1,0]
	v_accvgpr_write_b32 a9, v27
	v_pk_fma_f32 v[26:27], v[48:49], s[36:37], v[24:25] op_sel:[0,0,1] op_sel_hi:[1,0,0]
	v_pk_fma_f32 v[80:81], v[48:49], s[36:37], v[24:25] op_sel:[0,0,1] op_sel_hi:[1,0,0] neg_lo:[0,0,1] neg_hi:[0,0,1]
	v_mov_b32_e32 v24, v26
	v_mov_b32_e32 v25, v81
	v_pk_add_f32 v[128:129], v[16:17], v[34:35] neg_lo:[0,1] neg_hi:[0,1]
	v_pk_add_f32 v[22:23], v[24:25], v[22:23]
	v_pk_add_f32 v[56:57], v[34:35], v[16:17]
	v_pk_mul_f32 v[24:25], v[128:129], s[16:17] op_sel:[1,0] op_sel_hi:[0,0]
	v_mov_b32_e32 v85, v27
	v_pk_fma_f32 v[26:27], v[56:57], s[36:37], v[24:25] op_sel_hi:[1,0,1]
	v_pk_fma_f32 v[92:93], v[56:57], s[36:37], v[24:25] op_sel_hi:[1,0,1] neg_lo:[0,0,1] neg_hi:[0,0,1]
	s_mov_b32 s18, 0xbf763a35
	v_mov_b32_e32 v24, v26
	v_mov_b32_e32 v25, v93
	s_mov_b32 s19, 0xbe8c1d8e
	s_mov_b32 s38, 0x3f763a35
	v_pk_add_f32 v[20:21], v[24:25], v[20:21]
	v_pk_mul_f32 v[24:25], v[50:51], s[38:39] op_sel_hi:[1,0]
	s_mov_b32 s39, s19
	v_accvgpr_write_b32 a13, v27
	s_mov_b32 s48, s19
	v_pk_mul_f32 v[26:27], v[128:129], s[38:39] op_sel:[1,0] op_sel_hi:[0,0]
	v_pk_fma_f32 v[54:55], v[56:57], s[48:49], v[26:27] op_sel_hi:[1,0,1]
	v_pk_fma_f32 v[88:89], v[56:57], s[48:49], v[26:27] op_sel_hi:[1,0,1] neg_lo:[0,0,1] neg_hi:[0,0,1]
	s_mov_b32 s20, 0x3f06c442
	v_mov_b32_e32 v26, v54
	v_mov_b32_e32 v27, v89
	s_mov_b32 s21, 0xbf59a7d5
	v_pk_add_f32 v[148:149], v[18:19], v[32:33] neg_lo:[0,1] neg_hi:[0,1]
	v_pk_add_f32 v[22:23], v[26:27], v[22:23]
	s_mov_b32 s46, s21
	v_pk_add_f32 v[60:61], v[32:33], v[18:19]
	v_pk_mul_f32 v[26:27], v[148:149], s[20:21] op_sel:[1,0] op_sel_hi:[0,0]
	v_accvgpr_write_b32 a11, v55
	v_pk_fma_f32 v[54:55], v[60:61], s[46:47], v[26:27] op_sel_hi:[1,0,1]
	v_pk_fma_f32 v[110:111], v[60:61], s[46:47], v[26:27] op_sel_hi:[1,0,1] neg_lo:[0,0,1] neg_hi:[0,0,1]
	v_mov_b32_e32 v26, v54
	v_mov_b32_e32 v27, v111
	s_mov_b32 s24, 0x3f2c7751
	v_pk_add_f32 v[20:21], v[26:27], v[20:21]
	s_mov_b32 s52, s7
	v_pk_mul_f32 v[26:27], v[148:149], s[24:25] op_sel:[1,0] op_sel_hi:[0,0]
	v_mov_b32_e32 v89, v55
	v_pk_fma_f32 v[54:55], v[60:61], s[52:53], v[26:27] op_sel_hi:[1,0,1]
	v_pk_fma_f32 v[106:107], v[60:61], s[52:53], v[26:27] op_sel_hi:[1,0,1] neg_lo:[0,0,1] neg_hi:[0,0,1]
	v_mov_b32_e32 v26, v54
	v_mov_b32_e32 v27, v107
	v_pk_add_f32 v[184:185], v[8:9], v[14:15] neg_lo:[0,1] neg_hi:[0,1]
	v_pk_add_f32 v[22:23], v[26:27], v[22:23]
	v_pk_add_f32 v[74:75], v[14:15], v[8:9]
	v_pk_mul_f32 v[26:27], v[184:185], s[38:39] op_sel:[1,0] op_sel_hi:[0,0]
	v_pk_fma_f32 v[116:117], v[74:75], s[48:49], v[26:27] op_sel_hi:[1,0,1]
	v_pk_fma_f32 v[118:119], v[74:75], s[48:49], v[26:27] op_sel_hi:[1,0,1] neg_lo:[0,0,1] neg_hi:[0,0,1]
	s_mov_b32 s30, 0xbeb8f4ab
	v_mov_b32_e32 v26, v116
	v_mov_b32_e32 v27, v119
	s_mov_b32 s31, 0x3f6eb680
	v_pk_add_f32 v[20:21], v[26:27], v[20:21]
	s_mov_b32 s56, s31
	v_pk_mul_f32 v[26:27], v[184:185], s[30:31] op_sel:[1,0] op_sel_hi:[0,0]
	v_pk_fma_f32 v[112:113], v[74:75], s[56:57], v[26:27] op_sel_hi:[1,0,1]
	v_pk_fma_f32 v[114:115], v[74:75], s[56:57], v[26:27] op_sel_hi:[1,0,1] neg_lo:[0,0,1] neg_hi:[0,0,1]
	v_mov_b32_e32 v26, v112
	v_mov_b32_e32 v27, v115
	s_mov_b32 s22, 0x3f65296c
	v_pk_add_f32 v[198:199], v[10:11], v[12:13] neg_lo:[0,1] neg_hi:[0,1]
	v_pk_add_f32 v[22:23], v[26:27], v[22:23]
	s_mov_b32 s54, s1
	v_pk_add_f32 v[76:77], v[12:13], v[10:11]
	v_pk_mul_f32 v[26:27], v[198:199], s[22:23] op_sel:[1,0] op_sel_hi:[0,0]
	v_pk_fma_f32 v[124:125], v[76:77], s[54:55], v[26:27] op_sel_hi:[1,0,1]
	v_pk_fma_f32 v[126:127], v[76:77], s[54:55], v[26:27] op_sel_hi:[1,0,1] neg_lo:[0,0,1] neg_hi:[0,0,1]
	v_mov_b32_e32 v26, v124
	v_mov_b32_e32 v27, v127
	v_pk_add_f32 v[20:21], v[26:27], v[20:21]
	s_mov_b32 s58, s11
	v_pk_mul_f32 v[26:27], v[198:199], s[10:11] op_sel:[1,0] op_sel_hi:[0,0]
	v_pk_fma_f32 v[120:121], v[76:77], s[58:59], v[26:27] op_sel_hi:[1,0,1]
	v_pk_fma_f32 v[122:123], v[76:77], s[58:59], v[26:27] op_sel_hi:[1,0,1] neg_lo:[0,0,1] neg_hi:[0,0,1]
	v_mov_b32_e32 v26, v120
	v_mov_b32_e32 v27, v123
	s_mov_b32 s28, 0x3eb8f4ab
	v_pk_add_f32 v[214:215], v[4:5], v[6:7] neg_lo:[0,1] neg_hi:[0,1]
	v_pk_add_f32 v[26:27], v[26:27], v[22:23]
	v_pk_add_f32 v[78:79], v[6:7], v[4:5]
	v_pk_mul_f32 v[22:23], v[214:215], s[28:29] op_sel:[1,0] op_sel_hi:[0,0]
	v_pk_fma_f32 v[138:139], v[78:79], s[56:57], v[22:23] op_sel_hi:[1,0,1]
	v_pk_fma_f32 v[140:141], v[78:79], s[56:57], v[22:23] op_sel_hi:[1,0,1] neg_lo:[0,0,1] neg_hi:[0,0,1]
	s_mov_b32 s26, 0xbf06c442
	v_mov_b32_e32 v22, v138
	v_mov_b32_e32 v23, v141
	v_pk_add_f32 v[22:23], v[22:23], v[20:21]
	v_pk_mul_f32 v[20:21], v[214:215], s[26:27] op_sel:[1,0] op_sel_hi:[0,0]
	v_pk_fma_f32 v[130:131], v[78:79], s[46:47], v[20:21] op_sel_hi:[1,0,1]
	v_pk_fma_f32 v[132:133], v[78:79], s[46:47], v[20:21] op_sel_hi:[1,0,1] neg_lo:[0,0,1] neg_hi:[0,0,1]
	v_mov_b32_e32 v20, v130
	v_mov_b32_e32 v21, v133
	s_mov_b32 s50, s17
	s_mov_b32 s51, s16
	v_pk_mul_f32 v[208:209], v[58:59], s[34:35]
	v_pk_add_f32 v[20:21], v[20:21], v[26:27]
	v_pk_fma_f32 v[204:205], v[28:29], s[10:11], v[208:209]
	v_pk_fma_f32 v[26:27], v[28:29], s[10:11], v[208:209] neg_lo:[0,0,1] neg_hi:[0,0,1]
	v_pk_mul_f32 v[210:211], v[72:73], s[50:51]
	v_accvgpr_write_b32 a19, v55
	v_mov_b32_e32 v26, v204
	v_pk_fma_f32 v[206:207], v[44:45], s[16:17], v[210:211]
	v_pk_fma_f32 v[54:55], v[44:45], s[16:17], v[210:211] neg_lo:[0,0,1] neg_hi:[0,0,1]
	v_pk_add_f32 v[26:27], v[26:27], v[0:1]
	v_mov_b32_e32 v54, v206
	v_pk_fma_f32 v[212:213], v[48:49], s[48:49], v[24:25] op_sel:[0,0,1] op_sel_hi:[1,0,0]
	v_pk_fma_f32 v[134:135], v[48:49], s[48:49], v[24:25] op_sel:[0,0,1] op_sel_hi:[1,0,0] neg_lo:[0,0,1] neg_hi:[0,0,1]
	s_mov_b32 s34, s19
	s_mov_b32 s35, s18
	v_pk_add_f32 v[26:27], v[54:55], v[26:27]
	v_mov_b32_e32 v24, v212
	v_mov_b32_e32 v25, v135
	s_mov_b32 s40, s21
	s_mov_b32 s41, s20
	v_pk_mul_f32 v[226:227], v[58:59], s[34:35]
	v_pk_add_f32 v[24:25], v[24:25], v[26:27]
	v_pk_fma_f32 v[222:223], v[28:29], s[18:19], v[226:227]
	v_pk_fma_f32 v[26:27], v[28:29], s[18:19], v[226:227] neg_lo:[0,0,1] neg_hi:[0,0,1]
	v_pk_mul_f32 v[228:229], v[72:73], s[40:41]
	v_mov_b32_e32 v26, v222
	v_pk_fma_f32 v[224:225], v[44:45], s[20:21], v[228:229]
	v_pk_fma_f32 v[54:55], v[44:45], s[20:21], v[228:229] neg_lo:[0,0,1] neg_hi:[0,0,1]
	v_pk_add_f32 v[26:27], v[26:27], v[0:1]
	v_mov_b32_e32 v54, v224
	v_pk_add_f32 v[26:27], v[54:55], v[26:27]
	v_pk_mul_f32 v[54:55], v[50:51], s[24:25] op_sel_hi:[1,0]
	s_mov_b32 s34, 0x3f7ee86f
	v_pk_fma_f32 v[230:231], v[48:49], s[52:53], v[54:55] op_sel:[0,0,1] op_sel_hi:[1,0,0]
	v_pk_fma_f32 v[136:137], v[48:49], s[52:53], v[54:55] op_sel:[0,0,1] op_sel_hi:[1,0,0] neg_lo:[0,0,1] neg_hi:[0,0,1]
	v_mov_b32_e32 v54, v230
	v_mov_b32_e32 v55, v137
	v_pk_add_f32 v[26:27], v[54:55], v[26:27]
	v_pk_mul_f32 v[54:55], v[128:129], s[28:29] op_sel:[1,0] op_sel_hi:[0,0]
	v_pk_fma_f32 v[216:217], v[56:57], s[56:57], v[54:55] op_sel_hi:[1,0,1]
	v_pk_fma_f32 v[146:147], v[56:57], s[56:57], v[54:55] op_sel_hi:[1,0,1] neg_lo:[0,0,1] neg_hi:[0,0,1]
	v_mov_b32_e32 v54, v216
	v_mov_b32_e32 v55, v147
	v_pk_add_f32 v[24:25], v[54:55], v[24:25]
	v_pk_mul_f32 v[54:55], v[128:129], s[0:1] op_sel:[1,0] op_sel_hi:[0,0]
	v_pk_fma_f32 v[240:241], v[56:57], s[54:55], v[54:55] op_sel_hi:[1,0,1]
	v_pk_fma_f32 v[142:143], v[56:57], s[54:55], v[54:55] op_sel_hi:[1,0,1] neg_lo:[0,0,1] neg_hi:[0,0,1]
	;; [unrolled: 6-line block ×6, first 2 shown]
	v_mov_b32_e32 v54, v152
	v_mov_b32_e32 v55, v155
	s_mov_b32 s40, 0x3f4c4adb
	v_pk_add_f32 v[26:27], v[54:55], v[26:27]
	v_pk_mul_f32 v[54:55], v[198:199], s[40:41] op_sel:[1,0] op_sel_hi:[0,0]
	v_pk_fma_f32 v[170:171], v[76:77], s[42:43], v[54:55] op_sel_hi:[1,0,1]
	v_pk_fma_f32 v[172:173], v[76:77], s[42:43], v[54:55] op_sel_hi:[1,0,1] neg_lo:[0,0,1] neg_hi:[0,0,1]
	v_mov_b32_e32 v54, v170
	v_mov_b32_e32 v55, v173
	v_pk_add_f32 v[24:25], v[54:55], v[24:25]
	v_pk_mul_f32 v[54:55], v[198:199], s[30:31] op_sel:[1,0] op_sel_hi:[0,0]
	v_pk_fma_f32 v[162:163], v[76:77], s[56:57], v[54:55] op_sel_hi:[1,0,1]
	v_pk_fma_f32 v[164:165], v[76:77], s[56:57], v[54:55] op_sel_hi:[1,0,1] neg_lo:[0,0,1] neg_hi:[0,0,1]
	v_mov_b32_e32 v54, v162
	v_mov_b32_e32 v55, v165
	;; [unrolled: 6-line block ×4, first 2 shown]
	s_mov_b32 s60, s31
	s_mov_b32 s61, s30
	v_pk_add_f32 v[24:25], v[24:25], v[54:55]
	v_pk_mul_f32 v[54:55], v[66:67], s[6:7] op_sel:[1,0] op_sel_hi:[0,0]
	v_pk_mul_f32 v[246:247], v[58:59], s[60:61]
	v_pk_fma_f32 v[218:219], v[30:31], s[52:53], v[54:55] op_sel_hi:[1,0,1]
	v_pk_fma_f32 v[220:221], v[30:31], s[52:53], v[54:55] op_sel_hi:[1,0,1] neg_lo:[0,0,1] neg_hi:[0,0,1]
	v_pk_fma_f32 v[244:245], v[28:29], s[30:31], v[246:247]
	v_pk_fma_f32 v[30:31], v[28:29], s[30:31], v[246:247] neg_lo:[0,0,1] neg_hi:[0,0,1]
	v_mov_b32_e32 v54, v218
	v_mov_b32_e32 v30, v244
	v_pk_add_f32 v[30:31], v[30:31], v[0:1]
	v_mov_b32_e32 v55, v221
	v_pk_add_f32 v[30:31], v[54:55], v[30:31]
	v_pk_mul_f32 v[54:55], v[50:51], s[0:1] op_sel_hi:[1,0]
	s_mov_b32 s60, s19
	v_pk_fma_f32 v[232:233], v[48:49], s[54:55], v[54:55] op_sel:[0,0,1] op_sel_hi:[1,0,0]
	v_pk_fma_f32 v[234:235], v[48:49], s[54:55], v[54:55] op_sel:[0,0,1] op_sel_hi:[1,0,0] neg_lo:[0,0,1] neg_hi:[0,0,1]
	v_mov_b32_e32 v54, v232
	v_mov_b32_e32 v55, v235
	v_pk_add_f32 v[30:31], v[54:55], v[30:31]
	v_pk_mul_f32 v[54:55], v[128:129], s[10:11] op_sel:[1,0] op_sel_hi:[0,0]
	v_pk_fma_f32 v[236:237], v[56:57], s[58:59], v[54:55] op_sel_hi:[1,0,1]
	v_pk_fma_f32 v[238:239], v[56:57], s[58:59], v[54:55] op_sel_hi:[1,0,1] neg_lo:[0,0,1] neg_hi:[0,0,1]
	v_mov_b32_e32 v54, v236
	v_mov_b32_e32 v55, v239
	s_mov_b32 s61, s38
	v_pk_mul_f32 v[98:99], v[58:59], s[44:45]
	v_pk_add_f32 v[30:31], v[54:55], v[30:31]
	v_pk_fma_f32 v[90:91], v[28:29], s[14:15], v[98:99]
	v_pk_fma_f32 v[54:55], v[28:29], s[14:15], v[98:99] neg_lo:[0,0,1] neg_hi:[0,0,1]
	v_pk_mul_f32 v[102:103], v[72:73], s[60:61]
	v_mov_b32_e32 v54, v90
	v_pk_fma_f32 v[94:95], v[44:45], s[38:39], v[102:103]
	v_pk_fma_f32 v[62:63], v[44:45], s[38:39], v[102:103] neg_lo:[0,0,1] neg_hi:[0,0,1]
	v_pk_add_f32 v[54:55], v[54:55], v[0:1]
	v_mov_b32_e32 v62, v94
	v_pk_add_f32 v[54:55], v[62:63], v[54:55]
	v_pk_mul_f32 v[62:63], v[50:51], s[30:31] op_sel_hi:[1,0]
	s_nop 0
	v_pk_fma_f32 v[104:105], v[48:49], s[56:57], v[62:63] op_sel:[0,0,1] op_sel_hi:[1,0,0]
	v_pk_fma_f32 v[186:187], v[48:49], s[56:57], v[62:63] op_sel:[0,0,1] op_sel_hi:[1,0,0] neg_lo:[0,0,1] neg_hi:[0,0,1]
	v_mov_b32_e32 v62, v104
	v_mov_b32_e32 v63, v187
	v_pk_add_f32 v[54:55], v[62:63], v[54:55]
	v_pk_mul_f32 v[62:63], v[128:129], s[26:27] op_sel:[1,0] op_sel_hi:[0,0]
	v_pk_fma_f32 v[64:65], v[56:57], s[46:47], v[62:63] op_sel_hi:[1,0,1]
	v_pk_fma_f32 v[188:189], v[56:57], s[46:47], v[62:63] op_sel_hi:[1,0,1] neg_lo:[0,0,1] neg_hi:[0,0,1]
	v_mov_b32_e32 v62, v64
	v_mov_b32_e32 v63, v189
	v_pk_add_f32 v[54:55], v[62:63], v[54:55]
	v_pk_mul_f32 v[62:63], v[148:149], s[18:19] op_sel:[1,0] op_sel_hi:[0,0]
	v_pk_fma_f32 v[248:249], v[60:61], s[48:49], v[62:63] op_sel_hi:[1,0,1]
	v_pk_fma_f32 v[250:251], v[60:61], s[48:49], v[62:63] op_sel_hi:[1,0,1] neg_lo:[0,0,1] neg_hi:[0,0,1]
	;; [unrolled: 6-line block ×9, first 2 shown]
	v_mov_b32_e32 v30, v200
	v_mov_b32_e32 v31, v203
	v_pk_add_f32 v[30:31], v[30:31], v[174:175]
	v_mul_lo_u16_e32 v64, 17, v176
	s_barrier
	s_and_saveexec_b64 s[36:37], vcc
	s_cbranch_execz .LBB0_7
; %bb.6:
	v_mov_b32_e32 v174, v185
	v_mov_b32_e32 v175, v184
	v_pk_mul_f32 v[184:185], v[28:29], s[14:15]
	v_pk_add_f32 v[2:3], v[2:3], v[0:1]
	v_pk_add_f32 v[98:99], v[98:99], v[184:185] neg_lo:[0,1] neg_hi:[0,1]
	v_pk_add_f32 v[2:3], v[36:37], v[2:3]
	v_mov_b32_e32 v99, v91
	v_pk_mul_f32 v[90:91], v[44:45], s[38:39]
	v_pk_add_f32 v[2:3], v[38:39], v[2:3]
	v_pk_add_f32 v[90:91], v[102:103], v[90:91] neg_lo:[0,1] neg_hi:[0,1]
	v_pk_add_f32 v[2:3], v[16:17], v[2:3]
	v_mov_b32_e32 v91, v95
	v_pk_mul_f32 v[94:95], v[44:45], s[20:21]
	v_pk_add_f32 v[2:3], v[18:19], v[2:3]
	v_pk_add_f32 v[102:103], v[228:229], v[94:95] neg_lo:[0,1] neg_hi:[0,1]
	v_pk_mul_f32 v[94:95], v[28:29], s[10:11]
	v_pk_mul_f32 v[184:185], v[28:29], s[30:31]
	v_pk_add_f32 v[2:3], v[8:9], v[2:3]
	v_mov_b32_e32 v187, v105
	v_pk_add_f32 v[104:105], v[208:209], v[94:95] neg_lo:[0,1] neg_hi:[0,1]
	v_pk_mul_f32 v[94:95], v[44:45], s[16:17]
	v_pk_add_f32 v[184:185], v[246:247], v[184:185] neg_lo:[0,1] neg_hi:[0,1]
	v_pk_add_f32 v[2:3], v[10:11], v[2:3]
	v_mov_b32_e32 v191, v109
	v_pk_add_f32 v[108:109], v[210:211], v[94:95] neg_lo:[0,1] neg_hi:[0,1]
	v_pk_mul_f32 v[94:95], v[28:29], s[0:1]
	v_mov_b32_e32 v185, v245
	v_pk_add_f32 v[2:3], v[4:5], v[2:3]
	v_mov_b32_e32 v105, v205
	v_pk_add_f32 v[204:205], v[96:97], v[94:95] neg_lo:[0,1] neg_hi:[0,1]
	v_pk_mul_f32 v[94:95], v[44:45], s[14:15]
	s_mov_b32 s38, s31
	s_mov_b32 s39, s28
	v_pk_add_f32 v[2:3], v[6:7], v[2:3]
	v_pk_add_f32 v[4:5], v[184:185], v[0:1]
	v_mov_b32_e32 v221, v219
	v_pk_add_f32 v[100:101], v[100:101], v[94:95] neg_lo:[0,1] neg_hi:[0,1]
	v_pk_mul_f32 v[94:95], v[72:73], s[38:39]
	s_mov_b32 s38, s21
	s_mov_b32 s39, s26
	v_pk_add_f32 v[2:3], v[12:13], v[2:3]
	v_pk_add_f32 v[4:5], v[220:221], v[4:5]
	v_mov_b32_e32 v235, v233
	v_pk_mul_f32 v[96:97], v[58:59], s[50:51]
	v_pk_mul_f32 v[58:59], v[58:59], s[38:39]
	s_mov_b32 s38, s1
	s_mov_b32 s39, s22
	v_pk_add_f32 v[2:3], v[14:15], v[2:3]
	v_pk_add_f32 v[4:5], v[234:235], v[4:5]
	v_mov_b32_e32 v239, v237
	v_mov_b32_e32 v68, v67
	v_pk_mul_f32 v[66:67], v[72:73], s[38:39]
	v_accvgpr_read_b32 v73, a3
	v_pk_add_f32 v[2:3], v[32:33], v[2:3]
	v_pk_add_f32 v[4:5], v[238:239], v[4:5]
	v_mov_b32_e32 v251, v249
	v_mov_b32_e32 v53, v176
	v_mov_b32_e32 v176, v149
	v_mov_b32_e32 v86, v177
	v_mov_b32_e32 v177, v148
	v_mov_b32_e32 v148, v199
	v_mov_b32_e32 v149, v198
	v_pk_mul_f32 v[198:199], v[28:29], s[6:7]
	v_accvgpr_read_b32 v72, a2
	v_pk_add_f32 v[2:3], v[34:35], v[2:3]
	v_pk_add_f32 v[4:5], v[250:251], v[4:5]
	v_mov_b32_e32 v255, v253
	v_pk_add_f32 v[72:73], v[72:73], v[198:199] neg_lo:[0,1] neg_hi:[0,1]
	v_accvgpr_read_b32 v199, a7
	v_pk_add_f32 v[2:3], v[40:41], v[2:3]
	v_pk_add_f32 v[4:5], v[254:255], v[4:5]
	v_mov_b32_e32 v63, v69
	v_mov_b32_e32 v189, v65
	v_mov_b32_e32 v109, v207
	v_pk_mul_f32 v[206:207], v[44:45], s[10:11]
	v_accvgpr_read_b32 v198, a6
	v_mov_b32_e32 v65, v52
	v_pk_add_f32 v[2:3], v[42:43], v[2:3]
	v_pk_add_f32 v[4:5], v[62:63], v[4:5]
	v_mov_b32_e32 v83, v87
	v_accvgpr_read_b32 v205, a17
	v_accvgpr_read_b32 v73, a1
	v_pk_add_f32 v[198:199], v[198:199], v[206:207] neg_lo:[0,1] neg_hi:[0,1]
	v_add_lshl_u32 v52, v65, v64, 3
	v_pk_add_f32 v[2:3], v[46:47], v[2:3]
	v_pk_add_f32 v[4:5], v[82:83], v[4:5]
	v_accvgpr_read_b32 v101, a15
	v_accvgpr_read_b32 v199, a5
	ds_write2_b64 v52, v[2:3], v[4:5] offset1:1
	v_pk_add_f32 v[2:3], v[72:73], v[0:1]
	v_pk_add_f32 v[4:5], v[204:205], v[0:1]
	v_mov_b32_e32 v81, v85
	v_pk_add_f32 v[2:3], v[198:199], v[2:3]
	v_accvgpr_read_b32 v85, a9
	v_pk_add_f32 v[4:5], v[100:101], v[4:5]
	v_pk_add_f32 v[2:3], v[84:85], v[2:3]
	v_accvgpr_read_b32 v93, a13
	v_mov_b32_e32 v111, v89
	v_pk_add_f32 v[4:5], v[80:81], v[4:5]
	v_accvgpr_read_b32 v89, a11
	v_pk_add_f32 v[2:3], v[92:93], v[2:3]
	v_pk_add_f32 v[4:5], v[88:89], v[4:5]
	v_accvgpr_read_b32 v107, a19
	v_pk_add_f32 v[2:3], v[110:111], v[2:3]
	v_mov_b32_e32 v119, v117
	v_pk_add_f32 v[4:5], v[106:107], v[4:5]
	v_mov_b32_e32 v115, v113
	v_mov_b32_e32 v193, v71
	v_pk_mul_f32 v[70:71], v[28:29], s[18:19]
	v_pk_add_f32 v[2:3], v[118:119], v[2:3]
	v_mov_b32_e32 v127, v125
	v_pk_add_f32 v[4:5], v[114:115], v[4:5]
	v_mov_b32_e32 v123, v121
	v_pk_add_f32 v[70:71], v[226:227], v[70:71] neg_lo:[0,1] neg_hi:[0,1]
	v_pk_add_f32 v[2:3], v[126:127], v[2:3]
	v_mov_b32_e32 v141, v139
	v_pk_add_f32 v[4:5], v[122:123], v[4:5]
	v_mov_b32_e32 v133, v131
	v_mov_b32_e32 v71, v223
	v_pk_add_f32 v[2:3], v[140:141], v[2:3]
	v_pk_add_f32 v[4:5], v[132:133], v[4:5]
	v_mov_b32_e32 v103, v225
	ds_write2_b64 v52, v[2:3], v[4:5] offset0:2 offset1:3
	v_pk_add_f32 v[2:3], v[104:105], v[0:1]
	v_pk_add_f32 v[4:5], v[70:71], v[0:1]
	v_mov_b32_e32 v137, v231
	v_mov_b32_e32 v135, v213
	v_pk_add_f32 v[2:3], v[108:109], v[2:3]
	v_pk_add_f32 v[4:5], v[102:103], v[4:5]
	v_mov_b32_e32 v143, v241
	v_mov_b32_e32 v147, v217
	v_pk_add_f32 v[2:3], v[134:135], v[2:3]
	v_pk_add_f32 v[4:5], v[136:137], v[4:5]
	v_mov_b32_e32 v145, v243
	v_pk_add_f32 v[2:3], v[146:147], v[2:3]
	v_mov_b32_e32 v157, v151
	v_pk_add_f32 v[4:5], v[142:143], v[4:5]
	v_pk_add_f32 v[2:3], v[156:157], v[2:3]
	v_mov_b32_e32 v161, v159
	v_pk_add_f32 v[4:5], v[144:145], v[4:5]
	v_mov_b32_e32 v155, v153
	;; [unrolled: 2-line block ×6, first 2 shown]
	s_mov_b32 s27, s21
	v_pk_add_f32 v[2:3], v[180:181], v[2:3]
	v_pk_add_f32 v[4:5], v[168:169], v[4:5]
	s_mov_b32 s23, s1
	ds_write2_b64 v52, v[2:3], v[4:5] offset0:4 offset1:5
	v_pk_fma_f32 v[4:5], v[28:29], s[26:27], v[58:59] neg_lo:[1,0,0] neg_hi:[1,0,0]
	v_pk_fma_f32 v[6:7], v[28:29], s[26:27], v[58:59]
	v_pk_fma_f32 v[8:9], v[68:69], s[22:23], v[66:67] neg_lo:[1,0,0] neg_hi:[1,0,0]
	v_mov_b32_e32 v5, v7
	v_pk_fma_f32 v[10:11], v[44:45], s[22:23], v[66:67]
	v_pk_add_f32 v[4:5], v[4:5], v[0:1]
	v_mov_b32_e32 v9, v11
	v_pk_add_f32 v[4:5], v[8:9], v[4:5]
	s_mov_b32 s0, s11
	v_pk_mul_f32 v[8:9], v[50:51], s[10:11] op_sel_hi:[1,0]
	v_mov_b32_e32 v112, v182
	v_pk_fma_f32 v[12:13], v[48:49], s[0:1], v[8:9] op_sel:[0,0,1] op_sel_hi:[1,0,0] neg_lo:[0,0,1] neg_hi:[0,0,1]
	v_pk_fma_f32 v[8:9], v[48:49], s[0:1], v[8:9] op_sel:[0,0,1] op_sel_hi:[1,0,0]
	v_mov_b32_e32 v182, v129
	v_mov_b32_e32 v116, v183
	;; [unrolled: 1-line block ×5, first 2 shown]
	v_pk_add_f32 v[4:5], v[14:15], v[4:5]
	s_mov_b32 s6, s15
	v_pk_mul_f32 v[14:15], v[182:183], s[40:41] op_sel_hi:[1,0]
	s_mov_b32 s10, s31
	v_pk_fma_f32 v[16:17], v[56:57], s[6:7], v[14:15] op_sel_hi:[1,0,1] neg_lo:[0,0,1] neg_hi:[0,0,1]
	v_pk_fma_f32 v[14:15], v[56:57], s[6:7], v[14:15] op_sel_hi:[1,0,1]
	v_mov_b32_e32 v18, v16
	v_mov_b32_e32 v19, v15
	v_pk_add_f32 v[4:5], v[18:19], v[4:5]
	v_pk_mul_f32 v[18:19], v[176:177], s[30:31] op_sel_hi:[1,0]
	v_pk_add_f32 v[2:3], v[98:99], v[0:1]
	v_pk_fma_f32 v[32:33], v[60:61], s[10:11], v[18:19] op_sel_hi:[1,0,1] neg_lo:[0,0,1] neg_hi:[0,0,1]
	v_pk_fma_f32 v[18:19], v[60:61], s[10:11], v[18:19] op_sel_hi:[1,0,1]
	v_mov_b32_e32 v34, v32
	v_mov_b32_e32 v35, v19
	v_pk_add_f32 v[4:5], v[34:35], v[4:5]
	s_mov_b32 s10, s17
	v_pk_mul_f32 v[34:35], v[174:175], s[16:17] op_sel_hi:[1,0]
	v_pk_add_f32 v[2:3], v[90:91], v[2:3]
	v_pk_fma_f32 v[36:37], v[74:75], s[10:11], v[34:35] op_sel_hi:[1,0,1] neg_lo:[0,0,1] neg_hi:[0,0,1]
	v_pk_fma_f32 v[34:35], v[74:75], s[10:11], v[34:35] op_sel_hi:[1,0,1]
	v_mov_b32_e32 v38, v36
	v_mov_b32_e32 v39, v35
	v_pk_add_f32 v[4:5], v[38:39], v[4:5]
	s_mov_b32 s10, s7
	v_pk_mul_f32 v[38:39], v[148:149], s[24:25] op_sel_hi:[1,0]
	v_pk_add_f32 v[2:3], v[186:187], v[2:3]
	v_pk_fma_f32 v[40:41], v[76:77], s[10:11], v[38:39] op_sel_hi:[1,0,1] neg_lo:[0,0,1] neg_hi:[0,0,1]
	v_pk_fma_f32 v[38:39], v[76:77], s[10:11], v[38:39] op_sel_hi:[1,0,1]
	v_mov_b32_e32 v128, v215
	v_mov_b32_e32 v129, v214
	v_pk_add_f32 v[2:3], v[188:189], v[2:3]
	v_mov_b32_e32 v42, v40
	v_mov_b32_e32 v43, v39
	v_pk_add_f32 v[2:3], v[190:191], v[2:3]
	v_pk_add_f32 v[4:5], v[42:43], v[4:5]
	s_mov_b32 s20, s19
	v_pk_mul_f32 v[42:43], v[128:129], s[18:19] op_sel_hi:[1,0]
	v_pk_add_f32 v[2:3], v[192:193], v[2:3]
	v_mov_b32_e32 v197, v195
	v_pk_fma_f32 v[46:47], v[78:79], s[20:21], v[42:43] op_sel_hi:[1,0,1] neg_lo:[0,0,1] neg_hi:[0,0,1]
	v_pk_fma_f32 v[42:43], v[78:79], s[20:21], v[42:43] op_sel_hi:[1,0,1]
	v_pk_add_f32 v[2:3], v[196:197], v[2:3]
	v_mov_b32_e32 v203, v201
	v_mov_b32_e32 v62, v46
	;; [unrolled: 1-line block ×3, first 2 shown]
	v_pk_add_f32 v[2:3], v[202:203], v[2:3]
	v_pk_add_f32 v[4:5], v[62:63], v[4:5]
	s_mov_b32 s29, s31
	ds_write2_b64 v52, v[2:3], v[4:5] offset0:6 offset1:7
	v_pk_fma_f32 v[2:3], v[28:29], s[16:17], v[96:97] neg_lo:[1,0,0] neg_hi:[1,0,0]
	v_pk_fma_f32 v[4:5], v[28:29], s[16:17], v[96:97]
	v_pk_fma_f32 v[62:63], v[68:69], s[28:29], v[94:95] neg_lo:[1,0,0] neg_hi:[1,0,0]
	v_mov_b32_e32 v3, v5
	v_pk_fma_f32 v[68:69], v[44:45], s[28:29], v[94:95]
	v_pk_add_f32 v[2:3], v[2:3], v[0:1]
	v_mov_b32_e32 v63, v69
	s_mov_b32 s30, s21
	v_pk_mul_f32 v[50:51], v[50:51], s[26:27] op_sel_hi:[1,0]
	v_pk_add_f32 v[2:3], v[62:63], v[2:3]
	v_pk_fma_f32 v[62:63], v[48:49], s[30:31], v[50:51] op_sel:[0,0,1] op_sel_hi:[1,0,0] neg_lo:[0,0,1] neg_hi:[0,0,1]
	v_pk_fma_f32 v[48:49], v[48:49], s[30:31], v[50:51] op_sel:[0,0,1] op_sel_hi:[1,0,0]
	v_mov_b32_e32 v50, v62
	v_mov_b32_e32 v51, v49
	v_pk_add_f32 v[2:3], v[50:51], v[2:3]
	v_pk_mul_f32 v[50:51], v[182:183], s[24:25] op_sel_hi:[1,0]
	v_mov_b32_e32 v49, v63
	v_pk_fma_f32 v[70:71], v[56:57], s[10:11], v[50:51] op_sel_hi:[1,0,1] neg_lo:[0,0,1] neg_hi:[0,0,1]
	v_pk_fma_f32 v[50:51], v[56:57], s[10:11], v[50:51] op_sel_hi:[1,0,1]
	v_mov_b32_e32 v56, v70
	v_mov_b32_e32 v57, v51
	v_pk_add_f32 v[2:3], v[56:57], v[2:3]
	v_pk_mul_f32 v[56:57], v[176:177], s[14:15] op_sel_hi:[1,0]
	v_mov_b32_e32 v51, v71
	v_pk_fma_f32 v[72:73], v[60:61], s[6:7], v[56:57] op_sel_hi:[1,0,1] neg_lo:[0,0,1] neg_hi:[0,0,1]
	v_pk_fma_f32 v[56:57], v[60:61], s[6:7], v[56:57] op_sel_hi:[1,0,1]
	v_mov_b32_e32 v60, v72
	v_mov_b32_e32 v61, v57
	v_pk_add_f32 v[2:3], v[60:61], v[2:3]
	s_mov_b32 s6, s1
	v_pk_mul_f32 v[60:61], v[174:175], s[22:23] op_sel_hi:[1,0]
	v_mov_b32_e32 v57, v73
	v_pk_fma_f32 v[80:81], v[74:75], s[6:7], v[60:61] op_sel_hi:[1,0,1] neg_lo:[0,0,1] neg_hi:[0,0,1]
	v_pk_fma_f32 v[60:61], v[74:75], s[6:7], v[60:61] op_sel_hi:[1,0,1]
	v_mov_b32_e32 v74, v80
	v_mov_b32_e32 v75, v61
	v_pk_add_f32 v[2:3], v[74:75], v[2:3]
	v_pk_mul_f32 v[74:75], v[148:149], s[18:19] op_sel_hi:[1,0]
	v_mov_b32_e32 v61, v81
	v_pk_fma_f32 v[82:83], v[76:77], s[20:21], v[74:75] op_sel_hi:[1,0,1] neg_lo:[0,0,1] neg_hi:[0,0,1]
	v_pk_fma_f32 v[74:75], v[76:77], s[20:21], v[74:75] op_sel_hi:[1,0,1]
	v_mov_b32_e32 v76, v82
	v_mov_b32_e32 v77, v75
	v_pk_add_f32 v[2:3], v[76:77], v[2:3]
	;; [unrolled: 7-line block ×3, first 2 shown]
	v_pk_fma_f32 v[78:79], v[28:29], s[16:17], v[96:97] neg_lo:[0,0,1] neg_hi:[0,0,1]
	v_mov_b32_e32 v77, v85
	v_mov_b32_e32 v5, v79
	v_pk_fma_f32 v[78:79], v[44:45], s[28:29], v[94:95] neg_lo:[0,0,1] neg_hi:[0,0,1]
	v_pk_add_f32 v[4:5], v[4:5], v[0:1]
	v_mov_b32_e32 v69, v79
	v_pk_add_f32 v[4:5], v[68:69], v[4:5]
	v_mov_b32_e32 v9, v13
	;; [unrolled: 2-line block ×7, first 2 shown]
	v_pk_add_f32 v[4:5], v[76:77], v[4:5]
	ds_write2_b64 v52, v[2:3], v[4:5] offset0:8 offset1:9
	v_pk_fma_f32 v[2:3], v[28:29], s[26:27], v[58:59] neg_lo:[0,0,1] neg_hi:[0,0,1]
	v_mov_b32_e32 v183, v116
	v_mov_b32_e32 v7, v3
	v_pk_fma_f32 v[2:3], v[44:45], s[22:23], v[66:67] neg_lo:[0,0,1] neg_hi:[0,0,1]
	v_pk_add_f32 v[0:1], v[6:7], v[0:1]
	v_mov_b32_e32 v11, v3
	v_pk_add_f32 v[0:1], v[10:11], v[0:1]
	v_mov_b32_e32 v182, v112
	;; [unrolled: 2-line block ×4, first 2 shown]
	v_pk_add_f32 v[0:1], v[18:19], v[0:1]
	s_nop 0
	v_pk_add_f32 v[0:1], v[34:35], v[0:1]
	s_nop 0
	;; [unrolled: 2-line block ×3, first 2 shown]
	v_pk_add_f32 v[0:1], v[42:43], v[0:1]
	ds_write2_b64 v52, v[0:1], v[30:31] offset0:10 offset1:11
	ds_write2_b64 v52, v[24:25], v[26:27] offset0:12 offset1:13
	;; [unrolled: 1-line block ×3, first 2 shown]
	ds_write_b64 v52, v[54:55] offset:128
	v_mov_b32_e32 v52, v65
.LBB0_7:
	s_or_b64 exec, exec, s[36:37]
	v_mul_u32_u24_e32 v0, 10, v176
	v_lshlrev_b32_e32 v28, 3, v0
	s_load_dwordx4 s[0:3], s[2:3], 0x0
	s_waitcnt lgkmcnt(0)
	s_barrier
	global_load_dwordx4 v[0:3], v28, s[4:5]
	global_load_dwordx4 v[12:15], v28, s[4:5] offset:16
	global_load_dwordx4 v[8:11], v28, s[4:5] offset:32
	;; [unrolled: 1-line block ×4, first 2 shown]
	v_add_lshl_u32 v229, v52, v176, 3
	ds_read2_b64 v[44:47], v229 offset1:17
	ds_read2_b64 v[32:35], v229 offset0:34 offset1:51
	ds_read2_b64 v[36:39], v229 offset0:68 offset1:85
	ds_read2_b64 v[40:43], v229 offset0:102 offset1:119
	ds_read2_b64 v[48:51], v229 offset0:136 offset1:153
	ds_read_b64 v[28:29], v229 offset:1360
	s_mov_b32 s5, 0x3ed4b147
	s_mov_b32 s4, 0xbf68dda4
	;; [unrolled: 1-line block ×20, first 2 shown]
	v_lshl_add_u32 v228, v176, 3, v183
	s_waitcnt vmcnt(4) lgkmcnt(5)
	v_pk_mul_f32 v[58:59], v[46:47], v[0:1] op_sel:[1,0] op_sel_hi:[0,1]
	s_waitcnt vmcnt(3) lgkmcnt(3)
	v_pk_mul_f32 v[66:67], v[36:37], v[14:15] op_sel:[1,0] op_sel_hi:[0,1]
	s_waitcnt vmcnt(2)
	v_pk_mul_f32 v[68:69], v[38:39], v[8:9] op_sel:[1,0] op_sel_hi:[0,1]
	v_mov_b32_e32 v58, v3
	v_mov_b32_e32 v66, v9
	v_mov_b32_e32 v68, v11
	s_waitcnt lgkmcnt(2)
	v_pk_mul_f32 v[70:71], v[40:41], v[10:11] op_sel:[1,0] op_sel_hi:[0,1]
	s_waitcnt vmcnt(1)
	v_pk_mul_f32 v[72:73], v[42:43], v[4:5] op_sel:[1,0] op_sel_hi:[0,1]
	s_waitcnt lgkmcnt(1)
	v_pk_mul_f32 v[74:75], v[48:49], v[6:7] op_sel:[1,0] op_sel_hi:[0,1]
	s_waitcnt vmcnt(0) lgkmcnt(0)
	v_pk_mul_f32 v[78:79], v[28:29], v[18:19] op_sel:[1,0] op_sel_hi:[0,1]
	v_mov_b32_e32 v56, v1
	v_pk_mul_f32 v[60:61], v[32:33], v[2:3] op_sel:[1,0] op_sel_hi:[0,1]
	v_mov_b32_e32 v70, v5
	v_mov_b32_e32 v72, v7
	;; [unrolled: 1-line block ×3, first 2 shown]
	v_pk_mul_f32 v[76:77], v[50:51], v[16:17] op_sel:[1,0] op_sel_hi:[0,1]
	v_mov_b32_e32 v78, v59
	v_pk_mul_f32 v[58:59], v[32:33], v[58:59] op_sel:[1,0] op_sel_hi:[0,1]
	v_mov_b32_e32 v84, v67
	;; [unrolled: 2-line block ×8, first 2 shown]
	v_pk_fma_f32 v[98:99], v[32:33], v[2:3], v[58:59] neg_lo:[0,0,1] neg_hi:[0,0,1]
	v_pk_fma_f32 v[58:59], v[38:39], v[8:9], v[66:67] neg_lo:[0,0,1] neg_hi:[0,0,1]
	v_pk_fma_f32 v[38:39], v[38:39], v[8:9], v[86:87] op_sel:[1,0,0] op_sel_hi:[0,1,1]
	v_pk_fma_f32 v[66:67], v[40:41], v[10:11], v[68:69] neg_lo:[0,0,1] neg_hi:[0,0,1]
	v_pk_fma_f32 v[40:41], v[40:41], v[10:11], v[88:89] op_sel:[1,0,0] op_sel_hi:[0,1,1]
	v_mov_b32_e32 v60, v13
	v_pk_mul_f32 v[62:63], v[34:35], v[12:13] op_sel:[1,0] op_sel_hi:[0,1]
	v_pk_fma_f32 v[56:57], v[46:47], v[0:1], v[56:57] neg_lo:[0,0,1] neg_hi:[0,0,1]
	v_pk_fma_f32 v[32:33], v[32:33], v[2:3], v[80:81] op_sel:[1,0,0] op_sel_hi:[0,1,1]
	v_pk_fma_f32 v[68:69], v[42:43], v[4:5], v[70:71] neg_lo:[0,0,1] neg_hi:[0,0,1]
	v_pk_fma_f32 v[70:71], v[48:49], v[6:7], v[72:73] neg_lo:[0,0,1] neg_hi:[0,0,1]
	v_pk_fma_f32 v[72:73], v[48:49], v[6:7], v[92:93] op_sel:[1,0,0] op_sel_hi:[0,1,1]
	v_pk_fma_f32 v[74:75], v[50:51], v[16:17], v[74:75] neg_lo:[0,0,1] neg_hi:[0,0,1]
	v_pk_fma_f32 v[80:81], v[50:51], v[16:17], v[94:95] op_sel:[1,0,0] op_sel_hi:[0,1,1]
	v_mov_b32_e32 v48, v58
	v_mov_b32_e32 v49, v38
	;; [unrolled: 1-line block ×5, first 2 shown]
	v_pk_mul_f32 v[60:61], v[34:35], v[60:61] op_sel:[1,0] op_sel_hi:[0,1]
	v_mov_b32_e32 v96, v79
	v_pk_fma_f32 v[78:79], v[46:47], v[0:1], v[78:79] op_sel:[1,0,0] op_sel_hi:[0,1,1]
	v_pk_add_f32 v[46:47], v[48:49], v[50:51]
	v_pk_add_f32 v[48:49], v[48:49], v[50:51] neg_lo:[0,1] neg_hi:[0,1]
	v_pk_add_f32 v[50:51], v[44:45], v[56:57]
	v_mov_b32_e32 v86, v45
	v_mov_b32_e32 v82, v63
	v_pk_mul_f32 v[62:63], v[36:37], v[62:63] op_sel:[1,0] op_sel_hi:[0,1]
	v_pk_fma_f32 v[60:61], v[34:35], v[12:13], v[60:61] neg_lo:[0,0,1] neg_hi:[0,0,1]
	v_pk_add_f32 v[86:87], v[86:87], v[78:79]
	v_pk_add_f32 v[50:51], v[50:51], v[98:99]
	v_pk_fma_f32 v[34:35], v[34:35], v[12:13], v[82:83] op_sel:[1,0,0] op_sel_hi:[0,1,1]
	v_pk_fma_f32 v[62:63], v[36:37], v[14:15], v[62:63] neg_lo:[0,0,1] neg_hi:[0,0,1]
	v_pk_add_f32 v[86:87], v[86:87], v[32:33]
	v_pk_add_f32 v[50:51], v[50:51], v[60:61]
	v_mov_b32_e32 v76, v19
	v_pk_fma_f32 v[36:37], v[36:37], v[14:15], v[84:85] op_sel:[1,0,0] op_sel_hi:[0,1,1]
	v_pk_add_f32 v[86:87], v[86:87], v[34:35]
	v_pk_add_f32 v[50:51], v[50:51], v[62:63]
	v_pk_mul_f32 v[76:77], v[28:29], v[76:77] op_sel:[1,0] op_sel_hi:[0,1]
	v_pk_add_f32 v[86:87], v[86:87], v[36:37]
	v_pk_add_f32 v[50:51], v[50:51], v[58:59]
	v_pk_fma_f32 v[76:77], v[28:29], v[18:19], v[76:77] neg_lo:[0,0,1] neg_hi:[0,0,1]
	v_pk_add_f32 v[38:39], v[86:87], v[38:39]
	v_pk_add_f32 v[50:51], v[50:51], v[66:67]
	v_pk_fma_f32 v[28:29], v[28:29], v[18:19], v[96:97] op_sel:[1,0,0] op_sel_hi:[0,1,1]
	v_pk_add_f32 v[38:39], v[38:39], v[40:41]
	v_pk_add_f32 v[40:41], v[50:51], v[68:69]
	;; [unrolled: 1-line block ×3, first 2 shown]
	v_pk_add_f32 v[56:57], v[56:57], v[76:77] neg_lo:[0,1] neg_hi:[0,1]
	v_mov_b32_e32 v85, v28
	v_mov_b32_e32 v51, v56
	v_pk_add_f32 v[66:67], v[78:79], v[28:29] neg_lo:[0,1] neg_hi:[0,1]
	v_pk_add_f32 v[28:29], v[78:79], v[28:29]
	v_mov_b32_e32 v56, v66
	v_mov_b32_e32 v57, v28
	v_pk_mul_f32 v[86:87], v[50:51], s[14:15]
	v_pk_fma_f32 v[42:43], v[42:43], v[4:5], v[90:91] op_sel:[1,0,0] op_sel_hi:[0,1,1]
	v_pk_fma_f32 v[58:59], v[66:67], s[4:5], v[86:87] neg_lo:[1,0,0] neg_hi:[1,0,0]
	v_pk_fma_f32 v[88:89], v[56:57], s[4:5], v[86:87]
	v_mov_b32_e32 v82, v74
	v_mov_b32_e32 v59, v89
	v_pk_add_f32 v[90:91], v[44:45], v[58:59]
	v_pk_add_f32 v[58:59], v[98:99], v[74:75]
	v_pk_add_f32 v[74:75], v[98:99], v[74:75] neg_lo:[0,1] neg_hi:[0,1]
	v_pk_mul_f32 v[28:29], v[50:51], s[10:11]
	v_mov_b32_e32 v59, v74
	v_pk_add_f32 v[74:75], v[32:33], v[80:81] neg_lo:[0,1] neg_hi:[0,1]
	v_pk_add_f32 v[32:33], v[32:33], v[80:81]
	v_mov_b32_e32 v83, v80
	v_mov_b32_e32 v84, v76
	v_pk_fma_f32 v[76:77], v[66:67], s[6:7], v[28:29] neg_lo:[1,0,0] neg_hi:[1,0,0]
	v_pk_fma_f32 v[78:79], v[56:57], s[6:7], v[28:29]
	v_mov_b32_e32 v80, v74
	v_mov_b32_e32 v81, v32
	v_pk_mul_f32 v[32:33], v[58:59], s[14:15]
	v_pk_fma_f32 v[28:29], v[56:57], s[6:7], v[28:29] neg_lo:[0,0,1] neg_hi:[0,0,1]
	v_mov_b32_e32 v77, v79
	v_pk_fma_f32 v[92:93], v[74:75], s[4:5], v[32:33] neg_lo:[1,0,0] neg_hi:[1,0,0]
	v_pk_fma_f32 v[94:95], v[80:81], s[4:5], v[32:33]
	v_mov_b32_e32 v79, v29
	v_pk_fma_f32 v[32:33], v[80:81], s[4:5], v[32:33] neg_lo:[0,0,1] neg_hi:[0,0,1]
	v_mov_b32_e32 v93, v95
	v_pk_add_f32 v[28:29], v[44:45], v[78:79]
	v_mov_b32_e32 v95, v33
	v_pk_mul_f32 v[32:33], v[58:59], s[18:19]
	s_mov_b32 s14, 0xbe903f40
	v_pk_add_f32 v[28:29], v[94:95], v[28:29]
	v_pk_fma_f32 v[78:79], v[74:75], s[20:21], v[32:33] neg_lo:[1,0,0] neg_hi:[1,0,0]
	v_pk_fma_f32 v[94:95], v[80:81], s[20:21], v[32:33]
	s_mov_b32 s15, 0xbf75a155
	v_mov_b32_e32 v79, v95
	s_mov_b32 s16, s15
	s_mov_b32 s17, s14
	v_pk_add_f32 v[78:79], v[78:79], v[90:91]
	v_pk_mul_f32 v[90:91], v[50:51], s[16:17]
	s_mov_b32 s36, s15
	v_pk_fma_f32 v[96:97], v[66:67], s[14:15], v[90:91] neg_lo:[1,0,0] neg_hi:[1,0,0]
	v_pk_fma_f32 v[98:99], v[56:57], s[14:15], v[90:91]
	v_pk_fma_f32 v[90:91], v[56:57], s[14:15], v[90:91] neg_lo:[0,0,1] neg_hi:[0,0,1]
	v_mov_b32_e32 v97, v99
	v_mov_b32_e32 v99, v91
	v_pk_add_f32 v[90:91], v[44:45], v[98:99]
	v_pk_mul_f32 v[98:99], v[58:59], s[22:23]
	v_pk_add_f32 v[96:97], v[44:45], v[96:97]
	v_pk_fma_f32 v[100:101], v[74:75], s[28:29], v[98:99] neg_lo:[1,0,0] neg_hi:[1,0,0]
	v_pk_fma_f32 v[102:103], v[80:81], s[28:29], v[98:99]
	v_pk_add_f32 v[38:39], v[38:39], v[42:43]
	v_mov_b32_e32 v101, v103
	v_pk_add_f32 v[96:97], v[100:101], v[96:97]
	v_pk_add_f32 v[100:101], v[60:61], v[70:71]
	v_pk_add_f32 v[60:61], v[60:61], v[70:71] neg_lo:[0,1] neg_hi:[0,1]
	v_pk_add_f32 v[40:41], v[40:41], v[70:71]
	v_mov_b32_e32 v101, v60
	v_pk_add_f32 v[60:61], v[34:35], v[72:73] neg_lo:[0,1] neg_hi:[0,1]
	v_pk_add_f32 v[34:35], v[34:35], v[72:73]
	v_mov_b32_e32 v70, v60
	v_mov_b32_e32 v71, v34
	s_mov_b32 s31, s15
	v_pk_mul_f32 v[34:35], v[100:101], s[36:37]
	v_pk_add_f32 v[38:39], v[38:39], v[72:73]
	v_pk_fma_f32 v[72:73], v[60:61], s[30:31], v[34:35] neg_lo:[1,0,0] neg_hi:[1,0,0]
	v_pk_fma_f32 v[104:105], v[70:71], s[30:31], v[34:35]
	s_mov_b32 s22, 0x3f7d64f0
	v_mov_b32_e32 v73, v105
	v_pk_add_f32 v[72:73], v[72:73], v[78:79]
	v_pk_fma_f32 v[78:79], v[56:57], s[4:5], v[86:87] neg_lo:[0,0,1] neg_hi:[0,0,1]
	v_pk_fma_f32 v[32:33], v[80:81], s[20:21], v[32:33] neg_lo:[0,0,1] neg_hi:[0,0,1]
	v_mov_b32_e32 v89, v79
	v_pk_add_f32 v[78:79], v[44:45], v[88:89]
	v_pk_add_f32 v[88:89], v[62:63], v[68:69]
	v_pk_add_f32 v[62:63], v[62:63], v[68:69] neg_lo:[0,1] neg_hi:[0,1]
	s_mov_b32 s23, 0xbe11bafb
	v_mov_b32_e32 v95, v33
	v_pk_fma_f32 v[34:35], v[70:71], s[30:31], v[34:35] neg_lo:[0,0,1] neg_hi:[0,0,1]
	v_mov_b32_e32 v89, v62
	v_pk_add_f32 v[68:69], v[36:37], v[42:43] neg_lo:[0,1] neg_hi:[0,1]
	v_pk_add_f32 v[36:37], v[36:37], v[42:43]
	s_mov_b32 s26, s23
	s_mov_b32 s27, s22
	v_pk_add_f32 v[32:33], v[94:95], v[78:79]
	v_mov_b32_e32 v105, v35
	v_mov_b32_e32 v94, v68
	;; [unrolled: 1-line block ×3, first 2 shown]
	v_pk_mul_f32 v[42:43], v[88:89], s[26:27]
	v_pk_add_f32 v[32:33], v[104:105], v[32:33]
	v_pk_fma_f32 v[104:105], v[68:69], s[22:23], v[42:43] neg_lo:[1,0,0] neg_hi:[1,0,0]
	v_pk_fma_f32 v[106:107], v[94:95], s[22:23], v[42:43]
	s_mov_b32 s34, s23
	v_mov_b32_e32 v105, v107
	v_pk_fma_f32 v[98:99], v[80:81], s[28:29], v[98:99] neg_lo:[0,0,1] neg_hi:[0,0,1]
	v_pk_mul_f32 v[34:35], v[100:101], s[18:19]
	v_pk_add_f32 v[72:73], v[104:105], v[72:73]
	s_mov_b32 s25, s23
	v_pk_mul_f32 v[104:105], v[50:51], s[34:35]
	v_pk_fma_f32 v[78:79], v[60:61], s[20:21], v[34:35] neg_lo:[1,0,0] neg_hi:[1,0,0]
	v_pk_fma_f32 v[86:87], v[70:71], s[20:21], v[34:35]
	v_pk_fma_f32 v[34:35], v[70:71], s[20:21], v[34:35] neg_lo:[0,0,1] neg_hi:[0,0,1]
	v_pk_fma_f32 v[66:67], v[66:67], s[24:25], v[104:105] neg_lo:[1,0,0] neg_hi:[1,0,0]
	v_pk_fma_f32 v[108:109], v[56:57], s[24:25], v[104:105]
	v_pk_fma_f32 v[104:105], v[56:57], s[24:25], v[104:105] neg_lo:[0,0,1] neg_hi:[0,0,1]
	v_mov_b32_e32 v103, v99
	v_mov_b32_e32 v34, v86
	;; [unrolled: 1-line block ×3, first 2 shown]
	v_pk_mul_f32 v[110:111], v[58:59], s[36:37]
	v_mov_b32_e32 v109, v105
	v_mov_b32_e32 v41, v38
	v_pk_add_f32 v[38:39], v[102:103], v[90:91]
	v_pk_fma_f32 v[74:75], v[74:75], s[30:31], v[110:111] neg_lo:[1,0,0] neg_hi:[1,0,0]
	v_pk_fma_f32 v[112:113], v[80:81], s[30:31], v[110:111]
	v_pk_add_f32 v[104:105], v[44:45], v[108:109]
	v_pk_fma_f32 v[108:109], v[80:81], s[30:31], v[110:111] neg_lo:[0,0,1] neg_hi:[0,0,1]
	v_pk_add_f32 v[34:35], v[34:35], v[38:39]
	v_mov_b32_e32 v38, v88
	v_mov_b32_e32 v39, v36
	s_mov_b32 s30, s5
	s_mov_b32 s4, 0x3f68dda4
	v_pk_mul_f32 v[36:37], v[38:39], s[30:31] op_sel_hi:[1,0]
	v_mov_b32_e32 v38, v68
	v_mov_b32_e32 v39, v62
	v_pk_fma_f32 v[42:43], v[94:95], s[22:23], v[42:43] neg_lo:[0,0,1] neg_hi:[0,0,1]
	v_pk_add_f32 v[66:67], v[44:45], v[66:67]
	v_mov_b32_e32 v75, v113
	s_mov_b32 s36, s5
	s_mov_b32 s37, s4
	v_pk_fma_f32 v[62:63], v[38:39], s[4:5], v[36:37] op_sel_hi:[1,0,1] neg_lo:[1,0,0] neg_hi:[1,0,0]
	v_pk_fma_f32 v[36:37], v[38:39], s[4:5], v[36:37] op_sel_hi:[1,0,1]
	v_pk_add_f32 v[66:67], v[74:75], v[66:67]
	v_pk_mul_f32 v[74:75], v[100:101], s[36:37]
	v_mov_b32_e32 v107, v43
	v_mov_b32_e32 v79, v87
	;; [unrolled: 1-line block ×4, first 2 shown]
	v_pk_fma_f32 v[114:115], v[60:61], s[4:5], v[74:75] neg_lo:[1,0,0] neg_hi:[1,0,0]
	v_pk_fma_f32 v[116:117], v[70:71], s[4:5], v[74:75]
	v_pk_add_f32 v[42:43], v[106:107], v[32:33]
	v_pk_add_f32 v[32:33], v[40:41], v[82:83]
	;; [unrolled: 1-line block ×3, first 2 shown]
	v_mov_b32_e32 v38, v62
	v_pk_add_f32 v[62:63], v[36:37], v[34:35]
	s_mov_b32 s36, s7
	v_pk_mul_f32 v[34:35], v[48:49], s[28:29] op_sel:[1,0] op_sel_hi:[0,0]
	v_mov_b32_e32 v115, v117
	v_pk_add_f32 v[78:79], v[38:39], v[40:41]
	v_pk_fma_f32 v[40:41], v[46:47], s[36:37], v[34:35] op_sel_hi:[1,0,1] neg_lo:[0,0,1] neg_hi:[0,0,1]
	v_pk_fma_f32 v[82:83], v[46:47], s[36:37], v[34:35] op_sel_hi:[1,0,1]
	v_pk_add_f32 v[66:67], v[114:115], v[66:67]
	v_pk_mul_f32 v[114:115], v[88:89], s[10:11]
	v_mov_b32_e32 v34, v40
	v_mov_b32_e32 v35, v83
	s_mov_b32 s28, s21
	v_pk_fma_f32 v[118:119], v[68:69], s[6:7], v[114:115] neg_lo:[1,0,0] neg_hi:[1,0,0]
	v_pk_fma_f32 v[120:121], v[94:95], s[6:7], v[114:115]
	v_pk_add_f32 v[36:37], v[34:35], v[72:73]
	v_pk_mul_f32 v[34:35], v[46:47], s[28:29] op_sel_hi:[1,0]
	v_mov_b32_e32 v119, v121
	v_pk_add_f32 v[32:33], v[32:33], v[84:85]
	v_pk_fma_f32 v[72:73], v[48:49], s[20:21], v[34:35] op_sel:[1,0,0] op_sel_hi:[0,0,1] neg_lo:[1,0,0] neg_hi:[1,0,0]
	v_pk_fma_f32 v[84:85], v[48:49], s[20:21], v[34:35] op_sel:[1,0,0] op_sel_hi:[0,0,1]
	v_pk_add_f32 v[66:67], v[118:119], v[66:67]
	v_mov_b32_e32 v34, v72
	v_mov_b32_e32 v35, v85
	;; [unrolled: 1-line block ×3, first 2 shown]
	v_pk_mul_f32 v[72:73], v[100:101], s[34:35]
	v_pk_add_f32 v[38:39], v[34:35], v[66:67]
	v_pk_add_f32 v[66:67], v[44:45], v[76:77]
	v_pk_fma_f32 v[76:77], v[60:61], s[24:25], v[72:73] neg_lo:[1,0,0] neg_hi:[1,0,0]
	v_pk_fma_f32 v[86:87], v[70:71], s[24:25], v[72:73]
	v_mov_b32_e32 v113, v109
	v_pk_fma_f32 v[74:75], v[70:71], s[4:5], v[74:75] neg_lo:[0,0,1] neg_hi:[0,0,1]
	v_pk_add_f32 v[66:67], v[92:93], v[66:67]
	v_mov_b32_e32 v77, v87
	v_pk_add_f32 v[104:105], v[112:113], v[104:105]
	v_mov_b32_e32 v117, v75
	v_pk_add_f32 v[66:67], v[76:77], v[66:67]
	v_pk_mul_f32 v[76:77], v[88:89], s[18:19]
	v_pk_add_f32 v[74:75], v[116:117], v[104:105]
	v_pk_fma_f32 v[104:105], v[94:95], s[6:7], v[114:115] neg_lo:[0,0,1] neg_hi:[0,0,1]
	s_mov_b32 s28, s15
	v_pk_mul_f32 v[34:35], v[48:49], s[14:15] op_sel:[1,0] op_sel_hi:[0,0]
	v_pk_fma_f32 v[72:73], v[70:71], s[24:25], v[72:73] neg_lo:[0,0,1] neg_hi:[0,0,1]
	v_pk_fma_f32 v[90:91], v[68:69], s[20:21], v[76:77] neg_lo:[1,0,0] neg_hi:[1,0,0]
	v_pk_fma_f32 v[92:93], v[94:95], s[20:21], v[76:77]
	v_pk_fma_f32 v[76:77], v[94:95], s[20:21], v[76:77] neg_lo:[0,0,1] neg_hi:[0,0,1]
	v_mov_b32_e32 v121, v105
	v_mov_b32_e32 v91, v93
	;; [unrolled: 1-line block ×4, first 2 shown]
	v_pk_fma_f32 v[72:73], v[46:47], s[28:29], v[34:35] op_sel_hi:[1,0,1] neg_lo:[0,0,1] neg_hi:[0,0,1]
	v_pk_fma_f32 v[76:77], v[46:47], s[28:29], v[34:35] op_sel_hi:[1,0,1]
	v_pk_add_f32 v[74:75], v[120:121], v[74:75]
	v_pk_add_f32 v[66:67], v[90:91], v[66:67]
	;; [unrolled: 1-line block ×3, first 2 shown]
	v_mov_b32_e32 v34, v72
	v_mov_b32_e32 v35, v77
	v_pk_mul_f32 v[56:57], v[56:57], s[20:21]
	v_pk_add_f32 v[28:29], v[92:93], v[28:29]
	v_pk_add_f32 v[34:35], v[34:35], v[66:67]
	v_mov_b32_e32 v77, v73
	v_mov_b32_e32 v83, v41
	v_pk_add_f32 v[40:41], v[84:85], v[74:75]
	v_pk_fma_f32 v[66:67], v[50:51], s[18:19], v[56:57]
	v_pk_fma_f32 v[72:73], v[50:51], s[18:19], v[56:57] neg_lo:[1,0,0] neg_hi:[1,0,0]
	v_pk_mul_f32 v[74:75], v[80:81], s[22:23]
	v_pk_fma_f32 v[50:51], v[50:51], s[18:19], v[56:57] neg_lo:[0,0,1] neg_hi:[0,0,1]
	v_pk_add_f32 v[28:29], v[76:77], v[28:29]
	v_mov_b32_e32 v72, v66
	v_pk_fma_f32 v[76:77], v[58:59], s[26:27], v[74:75]
	v_pk_fma_f32 v[80:81], v[58:59], s[26:27], v[74:75] neg_lo:[1,0,0] neg_hi:[1,0,0]
	v_mov_b32_e32 v51, v67
	v_pk_add_f32 v[72:73], v[44:45], v[72:73]
	v_mov_b32_e32 v80, v76
	v_pk_add_f32 v[44:45], v[44:45], v[50:51]
	v_pk_fma_f32 v[50:51], v[58:59], s[26:27], v[74:75] neg_lo:[0,0,1] neg_hi:[0,0,1]
	v_pk_add_f32 v[72:73], v[80:81], v[72:73]
	v_pk_mul_f32 v[80:81], v[100:101], s[10:11]
	v_mov_b32_e32 v51, v77
	v_pk_add_f32 v[44:45], v[50:51], v[44:45]
	v_pk_fma_f32 v[50:51], v[60:61], s[6:7], v[80:81] neg_lo:[1,0,0] neg_hi:[1,0,0]
	v_pk_fma_f32 v[56:57], v[70:71], s[6:7], v[80:81]
	v_pk_add_f32 v[42:43], v[82:83], v[42:43]
	v_mov_b32_e32 v51, v57
	v_pk_add_f32 v[44:45], v[50:51], v[44:45]
	v_pk_fma_f32 v[50:51], v[70:71], s[6:7], v[80:81] neg_lo:[0,0,1] neg_hi:[0,0,1]
	s_nop 0
	v_mov_b32_e32 v57, v51
	v_pk_add_f32 v[50:51], v[56:57], v[72:73]
	v_pk_mul_f32 v[56:57], v[88:89], s[16:17]
	s_nop 0
	v_pk_fma_f32 v[58:59], v[68:69], s[14:15], v[56:57] neg_lo:[1,0,0] neg_hi:[1,0,0]
	v_pk_fma_f32 v[60:61], v[94:95], s[14:15], v[56:57]
	v_pk_fma_f32 v[56:57], v[94:95], s[14:15], v[56:57] neg_lo:[0,0,1] neg_hi:[0,0,1]
	v_mov_b32_e32 v59, v61
	v_mov_b32_e32 v56, v60
	v_pk_add_f32 v[50:51], v[56:57], v[50:51]
	v_pk_mul_f32 v[56:57], v[46:47], s[30:31] op_sel_hi:[1,0]
	v_pk_add_f32 v[44:45], v[58:59], v[44:45]
	v_pk_fma_f32 v[58:59], v[48:49], s[4:5], v[56:57] op_sel:[1,0,0] op_sel_hi:[0,0,1] neg_lo:[1,0,0] neg_hi:[1,0,0]
	v_pk_fma_f32 v[56:57], v[48:49], s[4:5], v[56:57] op_sel:[1,0,0] op_sel_hi:[0,0,1]
	v_mov_b32_e32 v61, v57
	v_mov_b32_e32 v57, v59
	s_mov_b32 s4, s23
	v_pk_mul_f32 v[48:49], v[48:49], s[24:25] op_sel:[1,0] op_sel_hi:[0,0]
	v_pk_add_f32 v[50:51], v[56:57], v[50:51]
	v_pk_fma_f32 v[56:57], v[46:47], s[4:5], v[48:49] op_sel_hi:[1,0,1] neg_lo:[0,0,1] neg_hi:[0,0,1]
	v_pk_fma_f32 v[48:49], v[46:47], s[4:5], v[48:49] op_sel_hi:[1,0,1]
	v_mov_b32_e32 v60, v58
	v_mov_b32_e32 v46, v56
	;; [unrolled: 1-line block ×4, first 2 shown]
	v_pk_add_f32 v[44:45], v[60:61], v[44:45]
	v_pk_add_f32 v[46:47], v[46:47], v[78:79]
	;; [unrolled: 1-line block ×3, first 2 shown]
	ds_write2_b64 v228, v[32:33], v[34:35] offset1:17
	ds_write2_b64 v228, v[36:37], v[38:39] offset0:34 offset1:51
	ds_write2_b64 v228, v[44:45], v[46:47] offset0:68 offset1:85
	;; [unrolled: 1-line block ×4, first 2 shown]
	ds_write_b64 v228, v[28:29] offset:1360
	s_waitcnt lgkmcnt(0)
	s_barrier
	s_and_saveexec_b64 s[4:5], vcc
	s_cbranch_execz .LBB0_9
; %bb.8:
	global_load_dwordx2 v[86:87], v177, s[8:9] offset:1496
	s_add_u32 s6, s8, 0x5d8
	s_addc_u32 s7, s9, 0
	global_load_dwordx2 v[88:89], v177, s[6:7] offset:88
	global_load_dwordx2 v[90:91], v177, s[6:7] offset:176
	;; [unrolled: 1-line block ×15, first 2 shown]
	ds_read2_b64 v[56:59], v228 offset1:11
	ds_read2_b64 v[60:63], v228 offset0:22 offset1:33
	global_load_dwordx2 v[118:119], v177, s[6:7] offset:1408
	ds_read2_b64 v[66:69], v228 offset0:44 offset1:55
	ds_read2_b64 v[70:73], v228 offset0:66 offset1:77
	ds_read2_b64 v[74:77], v228 offset0:88 offset1:99
	ds_read2_b64 v[78:81], v228 offset0:110 offset1:121
	ds_read2_b64 v[82:85], v228 offset0:132 offset1:143
	s_waitcnt vmcnt(14) lgkmcnt(5)
	v_mul_f32_e32 v53, v61, v91
	s_waitcnt vmcnt(13)
	v_mul_f32_e32 v65, v63, v93
	s_waitcnt vmcnt(12) lgkmcnt(4)
	v_mul_f32_e32 v122, v67, v95
	s_waitcnt vmcnt(11)
	v_mul_f32_e32 v123, v69, v97
	;; [unrolled: 4-line block ×5, first 2 shown]
	v_mul_f32_e32 v52, v57, v87
	v_mul_f32_e32 v121, v56, v87
	v_fma_f32 v120, v56, v86, -v52
	v_fmac_f32_e32 v121, v57, v86
	v_mul_f32_e32 v52, v59, v89
	v_mul_f32_e32 v57, v58, v89
	;; [unrolled: 1-line block ×12, first 2 shown]
	v_fma_f32 v56, v58, v88, -v52
	v_fmac_f32_e32 v57, v59, v88
	v_fma_f32 v86, v60, v90, -v53
	v_fmac_f32_e32 v87, v61, v90
	;; [unrolled: 2-line block ×11, first 2 shown]
	ds_write2_b64 v228, v[120:121], v[56:57] offset1:11
	ds_write2_b64 v228, v[86:87], v[88:89] offset0:22 offset1:33
	ds_write2_b64 v228, v[90:91], v[92:93] offset0:44 offset1:55
	;; [unrolled: 1-line block ×5, first 2 shown]
	ds_read2_b64 v[56:59], v228 offset0:154 offset1:165
	s_waitcnt vmcnt(4) lgkmcnt(7)
	v_mul_f32_e32 v109, v83, v111
	v_mul_f32_e32 v107, v82, v111
	s_waitcnt vmcnt(3)
	v_mul_f32_e32 v111, v85, v113
	v_mul_f32_e32 v61, v84, v113
	v_fma_f32 v106, v82, v110, -v109
	v_fmac_f32_e32 v107, v83, v110
	v_fma_f32 v60, v84, v112, -v111
	v_fmac_f32_e32 v61, v85, v112
	ds_write2_b64 v228, v[106:107], v[60:61] offset0:132 offset1:143
	s_waitcnt vmcnt(2) lgkmcnt(1)
	v_mul_f32_e32 v52, v57, v115
	v_mul_f32_e32 v61, v56, v115
	v_fma_f32 v60, v56, v114, -v52
	v_fmac_f32_e32 v61, v57, v114
	ds_read_b64 v[56:57], v228 offset:1408
	s_waitcnt vmcnt(1)
	v_mul_f32_e32 v52, v59, v117
	v_mul_f32_e32 v63, v58, v117
	v_fma_f32 v62, v58, v116, -v52
	v_fmac_f32_e32 v63, v59, v116
	s_waitcnt vmcnt(0) lgkmcnt(0)
	v_mul_f32_e32 v52, v57, v119
	v_mul_f32_e32 v59, v56, v119
	v_fma_f32 v58, v56, v118, -v52
	v_fmac_f32_e32 v59, v57, v118
	ds_write2_b64 v228, v[60:61], v[62:63] offset0:154 offset1:165
	ds_write_b64 v228, v[58:59] offset:1408
.LBB0_9:
	s_or_b64 exec, exec, s[4:5]
	s_waitcnt lgkmcnt(0)
	s_barrier
	s_and_saveexec_b64 s[4:5], vcc
	s_cbranch_execz .LBB0_11
; %bb.10:
	ds_read2_b64 v[32:35], v228 offset1:11
	ds_read2_b64 v[36:39], v228 offset0:22 offset1:33
	ds_read2_b64 v[44:47], v228 offset0:44 offset1:55
	;; [unrolled: 1-line block ×7, first 2 shown]
	ds_read_b64 v[54:55], v228 offset:1408
.LBB0_11:
	s_or_b64 exec, exec, s[4:5]
	s_waitcnt lgkmcnt(0)
	s_barrier
	s_and_saveexec_b64 s[4:5], vcc
	s_cbranch_execz .LBB0_13
; %bb.12:
	v_pk_add_f32 v[56:57], v[34:35], v[32:33]
	v_pk_add_f32 v[150:151], v[34:35], v[54:55] neg_lo:[0,1] neg_hi:[0,1]
	v_pk_add_f32 v[56:57], v[36:37], v[56:57]
	s_mov_b32 s26, 0xbeb8f4ab
	v_pk_add_f32 v[56:57], v[38:39], v[56:57]
	v_pk_add_f32 v[148:149], v[54:55], v[34:35]
	;; [unrolled: 1-line block ×5, first 2 shown]
	v_pk_add_f32 v[146:147], v[36:37], v[22:23] neg_lo:[0,1] neg_hi:[0,1]
	v_pk_add_f32 v[56:57], v[48:49], v[56:57]
	s_mov_b32 s16, 0x3f6eb680
	v_pk_add_f32 v[56:57], v[50:51], v[56:57]
	s_mov_b32 s40, 0xbf2c7751
	v_pk_add_f32 v[56:57], v[40:41], v[56:57]
	v_pk_add_f32 v[136:137], v[20:21], v[38:39]
	v_pk_add_f32 v[56:57], v[42:43], v[56:57]
	v_pk_add_f32 v[142:143], v[38:39], v[20:21] neg_lo:[0,1] neg_hi:[0,1]
	v_pk_add_f32 v[56:57], v[28:29], v[56:57]
	v_pk_add_f32 v[128:129], v[26:27], v[44:45]
	v_pk_add_f32 v[56:57], v[30:31], v[56:57]
	v_pk_add_f32 v[134:135], v[44:45], v[26:27] neg_lo:[0,1] neg_hi:[0,1]
	v_pk_add_f32 v[56:57], v[24:25], v[56:57]
	v_pk_add_f32 v[120:121], v[24:25], v[46:47]
	v_pk_add_f32 v[56:57], v[26:27], v[56:57]
	v_pk_add_f32 v[126:127], v[46:47], v[24:25] neg_lo:[0,1] neg_hi:[0,1]
	v_pk_add_f32 v[56:57], v[20:21], v[56:57]
	s_mov_b32 s14, 0x3f3d2fb0
	v_pk_add_f32 v[56:57], v[22:23], v[56:57]
	v_pk_mul_f32 v[22:23], v[150:151], s[26:27] op_sel_hi:[1,0]
	v_pk_mul_f32 v[26:27], v[146:147], s[40:41] op_sel_hi:[1,0]
	v_pk_fma_f32 v[24:25], v[148:149], s[16:17], v[22:23] op_sel:[0,0,1] op_sel_hi:[1,0,0]
	v_pk_fma_f32 v[20:21], v[148:149], s[16:17], v[22:23] op_sel:[0,0,1] op_sel_hi:[1,0,0] neg_lo:[0,0,1] neg_hi:[0,0,1]
	v_pk_add_f32 v[112:113], v[30:31], v[48:49]
	v_pk_add_f32 v[114:115], v[48:49], v[30:31] neg_lo:[0,1] neg_hi:[0,1]
	v_accvgpr_write_b32 a1, v25
	v_mov_b32_e32 v25, v21
	v_accvgpr_write_b32 a0, v20
	v_pk_fma_f32 v[30:31], v[144:145], s[14:15], v[26:27] op_sel:[0,0,1] op_sel_hi:[1,0,0]
	v_pk_fma_f32 v[20:21], v[144:145], s[14:15], v[26:27] op_sel:[0,0,1] op_sel_hi:[1,0,0] neg_lo:[0,0,1] neg_hi:[0,0,1]
	v_pk_add_f32 v[104:105], v[28:29], v[50:51]
	v_pk_add_f32 v[110:111], v[50:51], v[28:29] neg_lo:[0,1] neg_hi:[0,1]
	v_pk_add_f32 v[28:29], v[32:33], v[24:25]
	v_accvgpr_write_b32 a3, v31
	v_mov_b32_e32 v31, v21
	s_mov_b32 s48, 0xbf65296c
	v_pk_add_f32 v[34:35], v[30:31], v[28:29]
	s_mov_b32 s10, 0x3ee437d1
	v_pk_mul_f32 v[30:31], v[142:143], s[48:49] op_sel_hi:[1,0]
	s_mov_b32 s38, 0xbf7ee86f
	v_pk_fma_f32 v[36:37], v[136:137], s[10:11], v[30:31] op_sel:[0,0,1] op_sel_hi:[1,0,0]
	v_pk_fma_f32 v[252:253], v[136:137], s[10:11], v[30:31] op_sel:[0,0,1] op_sel_hi:[1,0,0] neg_lo:[0,0,1] neg_hi:[0,0,1]
	v_accvgpr_write_b32 a5, v37
	v_mov_b32_e32 v37, v253
	v_pk_add_f32 v[38:39], v[36:37], v[34:35]
	s_mov_b32 s6, 0x3dbcf732
	v_pk_mul_f32 v[36:37], v[134:135], s[38:39] op_sel_hi:[1,0]
	v_pk_add_f32 v[96:97], v[42:43], v[40:41]
	v_pk_add_f32 v[98:99], v[40:41], v[42:43] neg_lo:[0,1] neg_hi:[0,1]
	v_pk_fma_f32 v[40:41], v[128:129], s[6:7], v[36:37] op_sel:[0,0,1] op_sel_hi:[1,0,0]
	v_pk_fma_f32 v[248:249], v[128:129], s[6:7], v[36:37] op_sel:[0,0,1] op_sel_hi:[1,0,0] neg_lo:[0,0,1] neg_hi:[0,0,1]
	v_accvgpr_write_b32 a7, v41
	v_mov_b32_e32 v41, v249
	s_mov_b32 s20, 0xbf763a35
	v_pk_add_f32 v[42:43], v[40:41], v[38:39]
	s_mov_b32 s18, 0xbe8c1d8e
	v_pk_mul_f32 v[40:41], v[126:127], s[20:21] op_sel_hi:[1,0]
	s_mov_b32 s24, 0xbf4c4adb
	v_pk_fma_f32 v[44:45], v[120:121], s[18:19], v[40:41] op_sel:[0,0,1] op_sel_hi:[1,0,0]
	v_pk_fma_f32 v[244:245], v[120:121], s[18:19], v[40:41] op_sel:[0,0,1] op_sel_hi:[1,0,0] neg_lo:[0,0,1] neg_hi:[0,0,1]
	v_accvgpr_write_b32 a9, v45
	v_mov_b32_e32 v45, v245
	v_pk_add_f32 v[46:47], v[44:45], v[42:43]
	s_mov_b32 s22, 0xbf1a4643
	v_pk_mul_f32 v[44:45], v[114:115], s[24:25] op_sel_hi:[1,0]
	s_mov_b32 s30, 0xbf06c442
	v_pk_fma_f32 v[48:49], v[112:113], s[22:23], v[44:45] op_sel:[0,0,1] op_sel_hi:[1,0,0]
	v_pk_fma_f32 v[52:53], v[112:113], s[22:23], v[44:45] op_sel:[0,0,1] op_sel_hi:[1,0,0] neg_lo:[0,0,1] neg_hi:[0,0,1]
	v_accvgpr_write_b32 a11, v49
	v_mov_b32_e32 v49, v53
	v_pk_add_f32 v[50:51], v[48:49], v[46:47]
	s_mov_b32 s28, 0xbf59a7d5
	v_pk_mul_f32 v[48:49], v[110:111], s[30:31] op_sel_hi:[1,0]
	v_pk_add_f32 v[56:57], v[54:55], v[56:57]
	v_pk_fma_f32 v[54:55], v[104:105], s[28:29], v[48:49] op_sel:[0,0,1] op_sel_hi:[1,0,0]
	v_pk_fma_f32 v[48:49], v[104:105], s[28:29], v[48:49] op_sel:[0,0,1] op_sel_hi:[1,0,0] neg_lo:[0,0,1] neg_hi:[0,0,1]
	v_accvgpr_write_b32 a13, v55
	v_mov_b32_e32 v55, v49
	s_mov_b32 s36, 0xbe3c28d5
	v_pk_add_f32 v[58:59], v[54:55], v[50:51]
	s_mov_b32 s34, 0xbf7ba420
	v_pk_mul_f32 v[54:55], v[98:99], s[36:37] op_sel_hi:[1,0]
	v_lshl_add_u32 v216, v64, 3, v183
	v_pk_fma_f32 v[60:61], v[96:97], s[34:35], v[54:55] op_sel:[0,0,1] op_sel_hi:[1,0,0]
	v_pk_fma_f32 v[54:55], v[96:97], s[34:35], v[54:55] op_sel:[0,0,1] op_sel_hi:[1,0,0] neg_lo:[0,0,1] neg_hi:[0,0,1]
	v_accvgpr_write_b32 a15, v61
	v_mov_b32_e32 v61, v55
	v_pk_add_f32 v[58:59], v[60:61], v[58:59]
	ds_write2_b64 v216, v[56:57], v[58:59] offset1:1
	v_pk_mul_f32 v[58:59], v[150:151], s[40:41] op_sel_hi:[1,0]
	v_pk_mul_f32 v[62:63], v[146:147], s[38:39] op_sel_hi:[1,0]
	v_pk_fma_f32 v[60:61], v[148:149], s[14:15], v[58:59] op_sel:[0,0,1] op_sel_hi:[1,0,0]
	v_pk_fma_f32 v[58:59], v[148:149], s[14:15], v[58:59] op_sel:[0,0,1] op_sel_hi:[1,0,0] neg_lo:[0,0,1] neg_hi:[0,0,1]
	v_mov_b32_e32 v53, v61
	v_mov_b32_e32 v61, v59
	v_pk_fma_f32 v[66:67], v[144:145], s[6:7], v[62:63] op_sel:[0,0,1] op_sel_hi:[1,0,0]
	v_pk_fma_f32 v[62:63], v[144:145], s[6:7], v[62:63] op_sel:[0,0,1] op_sel_hi:[1,0,0] neg_lo:[0,0,1] neg_hi:[0,0,1]
	v_pk_add_f32 v[64:65], v[32:33], v[60:61]
	v_mov_b32_e32 v55, v67
	v_mov_b32_e32 v67, v63
	v_pk_add_f32 v[68:69], v[66:67], v[64:65]
	v_pk_mul_f32 v[66:67], v[142:143], s[24:25] op_sel_hi:[1,0]
	s_mov_b32 s52, 0x3f06c442
	v_pk_fma_f32 v[70:71], v[136:137], s[22:23], v[66:67] op_sel:[0,0,1] op_sel_hi:[1,0,0]
	v_pk_fma_f32 v[66:67], v[136:137], s[22:23], v[66:67] op_sel:[0,0,1] op_sel_hi:[1,0,0] neg_lo:[0,0,1] neg_hi:[0,0,1]
	v_mov_b32_e32 v245, v71
	v_mov_b32_e32 v71, v67
	v_pk_add_f32 v[72:73], v[70:71], v[68:69]
	v_pk_mul_f32 v[70:71], v[134:135], s[36:37] op_sel_hi:[1,0]
	s_mov_b32 s50, 0x3f763a35
	v_pk_fma_f32 v[74:75], v[128:129], s[34:35], v[70:71] op_sel:[0,0,1] op_sel_hi:[1,0,0]
	v_pk_fma_f32 v[70:71], v[128:129], s[34:35], v[70:71] op_sel:[0,0,1] op_sel_hi:[1,0,0] neg_lo:[0,0,1] neg_hi:[0,0,1]
	;; [unrolled: 7-line block ×4, first 2 shown]
	v_mov_b32_e32 v82, v76
	v_mov_b32_e32 v83, v79
	v_pk_add_f32 v[84:85], v[82:83], v[80:81]
	v_pk_mul_f32 v[82:83], v[110:111], s[42:43] op_sel_hi:[1,0]
	v_pk_mul_f32 v[94:95], v[146:147], s[24:25] op_sel_hi:[1,0]
	v_pk_fma_f32 v[80:81], v[104:105], s[10:11], v[82:83] op_sel:[0,0,1] op_sel_hi:[1,0,0]
	v_pk_fma_f32 v[82:83], v[104:105], s[10:11], v[82:83] op_sel:[0,0,1] op_sel_hi:[1,0,0] neg_lo:[0,0,1] neg_hi:[0,0,1]
	v_mov_b32_e32 v86, v80
	v_mov_b32_e32 v87, v83
	v_pk_add_f32 v[88:89], v[86:87], v[84:85]
	v_pk_mul_f32 v[86:87], v[98:99], s[44:45] op_sel_hi:[1,0]
	s_mov_b32 s46, 0x3e3c28d5
	v_pk_fma_f32 v[84:85], v[96:97], s[16:17], v[86:87] op_sel:[0,0,1] op_sel_hi:[1,0,0]
	v_pk_fma_f32 v[86:87], v[96:97], s[16:17], v[86:87] op_sel:[0,0,1] op_sel_hi:[1,0,0] neg_lo:[0,0,1] neg_hi:[0,0,1]
	v_mov_b32_e32 v90, v84
	v_mov_b32_e32 v91, v87
	v_pk_add_f32 v[152:153], v[90:91], v[88:89]
	v_pk_mul_f32 v[90:91], v[150:151], s[48:49] op_sel_hi:[1,0]
	v_pk_mul_f32 v[158:159], v[146:147], s[36:37] op_sel_hi:[1,0]
	v_pk_fma_f32 v[88:89], v[148:149], s[10:11], v[90:91] op_sel:[0,0,1] op_sel_hi:[1,0,0]
	v_pk_fma_f32 v[90:91], v[148:149], s[10:11], v[90:91] op_sel:[0,0,1] op_sel_hi:[1,0,0] neg_lo:[0,0,1] neg_hi:[0,0,1]
	v_mov_b32_e32 v92, v88
	v_mov_b32_e32 v93, v91
	v_pk_add_f32 v[100:101], v[32:33], v[92:93]
	v_pk_fma_f32 v[92:93], v[144:145], s[22:23], v[94:95] op_sel:[0,0,1] op_sel_hi:[1,0,0]
	v_pk_fma_f32 v[94:95], v[144:145], s[22:23], v[94:95] op_sel:[0,0,1] op_sel_hi:[1,0,0] neg_lo:[0,0,1] neg_hi:[0,0,1]
	v_mov_b32_e32 v102, v92
	v_mov_b32_e32 v103, v95
	v_pk_add_f32 v[106:107], v[102:103], v[100:101]
	v_pk_mul_f32 v[102:103], v[142:143], s[46:47] op_sel_hi:[1,0]
	s_mov_b32 s46, 0x3f2c7751
	v_pk_fma_f32 v[100:101], v[136:137], s[34:35], v[102:103] op_sel:[0,0,1] op_sel_hi:[1,0,0]
	v_pk_fma_f32 v[102:103], v[136:137], s[34:35], v[102:103] op_sel:[0,0,1] op_sel_hi:[1,0,0] neg_lo:[0,0,1] neg_hi:[0,0,1]
	v_mov_b32_e32 v108, v100
	v_mov_b32_e32 v109, v103
	v_pk_add_f32 v[116:117], v[108:109], v[106:107]
	v_pk_mul_f32 v[108:109], v[134:135], s[50:51] op_sel_hi:[1,0]
	v_accvgpr_write_b32 a2, v20
	v_pk_fma_f32 v[106:107], v[128:129], s[18:19], v[108:109] op_sel:[0,0,1] op_sel_hi:[1,0,0]
	v_pk_fma_f32 v[108:109], v[128:129], s[18:19], v[108:109] op_sel:[0,0,1] op_sel_hi:[1,0,0] neg_lo:[0,0,1] neg_hi:[0,0,1]
	v_mov_b32_e32 v118, v106
	v_mov_b32_e32 v119, v109
	v_pk_add_f32 v[122:123], v[118:119], v[116:117]
	v_pk_mul_f32 v[118:119], v[126:127], s[46:47] op_sel_hi:[1,0]
	v_mov_b32_e32 v20, v176
	v_pk_fma_f32 v[116:117], v[120:121], s[14:15], v[118:119] op_sel:[0,0,1] op_sel_hi:[1,0,0]
	v_pk_fma_f32 v[118:119], v[120:121], s[14:15], v[118:119] op_sel:[0,0,1] op_sel_hi:[1,0,0] neg_lo:[0,0,1] neg_hi:[0,0,1]
	v_mov_b32_e32 v124, v116
	v_mov_b32_e32 v125, v119
	v_pk_add_f32 v[130:131], v[124:125], v[122:123]
	v_pk_mul_f32 v[124:125], v[114:115], s[26:27] op_sel_hi:[1,0]
	v_mov_b32_e32 v49, v177
	v_pk_fma_f32 v[122:123], v[112:113], s[16:17], v[124:125] op_sel:[0,0,1] op_sel_hi:[1,0,0]
	v_pk_fma_f32 v[124:125], v[112:113], s[16:17], v[124:125] op_sel:[0,0,1] op_sel_hi:[1,0,0] neg_lo:[0,0,1] neg_hi:[0,0,1]
	v_mov_b32_e32 v132, v122
	v_mov_b32_e32 v133, v125
	v_pk_add_f32 v[138:139], v[132:133], v[130:131]
	v_pk_mul_f32 v[132:133], v[110:111], s[38:39] op_sel_hi:[1,0]
	s_mov_b32 s54, 0x3f4c4adb
	v_pk_fma_f32 v[130:131], v[104:105], s[6:7], v[132:133] op_sel:[0,0,1] op_sel_hi:[1,0,0]
	v_pk_fma_f32 v[132:133], v[104:105], s[6:7], v[132:133] op_sel:[0,0,1] op_sel_hi:[1,0,0] neg_lo:[0,0,1] neg_hi:[0,0,1]
	v_mov_b32_e32 v140, v130
	v_mov_b32_e32 v141, v133
	v_pk_add_f32 v[154:155], v[140:141], v[138:139]
	v_pk_mul_f32 v[140:141], v[98:99], s[30:31] op_sel_hi:[1,0]
	v_mov_b32_e32 v76, v182
	v_pk_fma_f32 v[138:139], v[96:97], s[28:29], v[140:141] op_sel:[0,0,1] op_sel_hi:[1,0,0]
	v_pk_fma_f32 v[140:141], v[96:97], s[28:29], v[140:141] op_sel:[0,0,1] op_sel_hi:[1,0,0] neg_lo:[0,0,1] neg_hi:[0,0,1]
	v_mov_b32_e32 v156, v138
	v_mov_b32_e32 v157, v141
	v_pk_add_f32 v[154:155], v[156:157], v[154:155]
	ds_write2_b64 v216, v[152:153], v[154:155] offset0:2 offset1:3
	v_pk_mul_f32 v[154:155], v[150:151], s[38:39] op_sel_hi:[1,0]
	v_pk_mul_f32 v[190:191], v[146:147], s[52:53] op_sel_hi:[1,0]
	v_pk_fma_f32 v[152:153], v[148:149], s[6:7], v[154:155] op_sel:[0,0,1] op_sel_hi:[1,0,0]
	v_pk_fma_f32 v[154:155], v[148:149], s[6:7], v[154:155] op_sel:[0,0,1] op_sel_hi:[1,0,0] neg_lo:[0,0,1] neg_hi:[0,0,1]
	v_mov_b32_e32 v156, v152
	v_mov_b32_e32 v157, v155
	v_pk_add_f32 v[160:161], v[32:33], v[156:157]
	v_pk_fma_f32 v[156:157], v[144:145], s[34:35], v[158:159] op_sel:[0,0,1] op_sel_hi:[1,0,0]
	v_pk_fma_f32 v[158:159], v[144:145], s[34:35], v[158:159] op_sel:[0,0,1] op_sel_hi:[1,0,0] neg_lo:[0,0,1] neg_hi:[0,0,1]
	v_mov_b32_e32 v162, v156
	v_mov_b32_e32 v163, v159
	v_pk_add_f32 v[164:165], v[162:163], v[160:161]
	v_pk_mul_f32 v[162:163], v[142:143], s[50:51] op_sel_hi:[1,0]
	v_pk_mul_f32 v[226:227], v[146:147], s[50:51] op_sel_hi:[1,0]
	v_pk_fma_f32 v[160:161], v[136:137], s[18:19], v[162:163] op_sel:[0,0,1] op_sel_hi:[1,0,0]
	v_pk_fma_f32 v[162:163], v[136:137], s[18:19], v[162:163] op_sel:[0,0,1] op_sel_hi:[1,0,0] neg_lo:[0,0,1] neg_hi:[0,0,1]
	v_mov_b32_e32 v166, v160
	v_mov_b32_e32 v167, v163
	v_pk_add_f32 v[168:169], v[166:167], v[164:165]
	v_pk_mul_f32 v[166:167], v[134:135], s[44:45] op_sel_hi:[1,0]
	v_pk_fma_f32 v[72:73], v[144:145], s[18:19], v[226:227] op_sel:[0,0,1] op_sel_hi:[1,0,0]
	v_pk_fma_f32 v[164:165], v[128:129], s[16:17], v[166:167] op_sel:[0,0,1] op_sel_hi:[1,0,0]
	v_pk_fma_f32 v[166:167], v[128:129], s[16:17], v[166:167] op_sel:[0,0,1] op_sel_hi:[1,0,0] neg_lo:[0,0,1] neg_hi:[0,0,1]
	v_mov_b32_e32 v170, v164
	v_mov_b32_e32 v171, v167
	v_pk_add_f32 v[172:173], v[170:171], v[168:169]
	v_pk_mul_f32 v[170:171], v[126:127], s[48:49] op_sel_hi:[1,0]
	v_pk_fma_f32 v[226:227], v[144:145], s[18:19], v[226:227] op_sel:[0,0,1] op_sel_hi:[1,0,0] neg_lo:[0,0,1] neg_hi:[0,0,1]
	v_pk_fma_f32 v[168:169], v[120:121], s[10:11], v[170:171] op_sel:[0,0,1] op_sel_hi:[1,0,0]
	v_pk_fma_f32 v[170:171], v[120:121], s[10:11], v[170:171] op_sel:[0,0,1] op_sel_hi:[1,0,0] neg_lo:[0,0,1] neg_hi:[0,0,1]
	v_mov_b32_e32 v174, v168
	v_mov_b32_e32 v175, v171
	v_pk_add_f32 v[176:177], v[174:175], v[172:173]
	v_pk_mul_f32 v[174:175], v[114:115], s[30:31] op_sel_hi:[1,0]
	v_mov_b32_e32 v230, v72
	v_pk_fma_f32 v[172:173], v[112:113], s[28:29], v[174:175] op_sel:[0,0,1] op_sel_hi:[1,0,0]
	v_pk_fma_f32 v[174:175], v[112:113], s[28:29], v[174:175] op_sel:[0,0,1] op_sel_hi:[1,0,0] neg_lo:[0,0,1] neg_hi:[0,0,1]
	v_mov_b32_e32 v178, v172
	v_mov_b32_e32 v179, v175
	v_pk_add_f32 v[180:181], v[178:179], v[176:177]
	v_pk_mul_f32 v[178:179], v[110:111], s[54:55] op_sel_hi:[1,0]
	v_mov_b32_e32 v231, v227
	;; [unrolled: 7-line block ×4, first 2 shown]
	v_pk_fma_f32 v[184:185], v[148:149], s[18:19], v[186:187] op_sel:[0,0,1] op_sel_hi:[1,0,0]
	v_pk_fma_f32 v[186:187], v[148:149], s[18:19], v[186:187] op_sel:[0,0,1] op_sel_hi:[1,0,0] neg_lo:[0,0,1] neg_hi:[0,0,1]
	v_mov_b32_e32 v188, v184
	v_mov_b32_e32 v189, v187
	v_pk_add_f32 v[192:193], v[32:33], v[188:189]
	v_pk_fma_f32 v[188:189], v[144:145], s[28:29], v[190:191] op_sel:[0,0,1] op_sel_hi:[1,0,0]
	v_pk_fma_f32 v[190:191], v[144:145], s[28:29], v[190:191] op_sel:[0,0,1] op_sel_hi:[1,0,0] neg_lo:[0,0,1] neg_hi:[0,0,1]
	v_mov_b32_e32 v194, v188
	v_mov_b32_e32 v195, v191
	v_pk_add_f32 v[196:197], v[194:195], v[192:193]
	v_pk_mul_f32 v[194:195], v[142:143], s[46:47] op_sel_hi:[1,0]
	v_mov_b32_e32 v227, v73
	v_pk_fma_f32 v[192:193], v[136:137], s[14:15], v[194:195] op_sel:[0,0,1] op_sel_hi:[1,0,0]
	v_pk_fma_f32 v[194:195], v[136:137], s[14:15], v[194:195] op_sel:[0,0,1] op_sel_hi:[1,0,0] neg_lo:[0,0,1] neg_hi:[0,0,1]
	v_mov_b32_e32 v198, v192
	v_mov_b32_e32 v199, v195
	v_pk_add_f32 v[200:201], v[198:199], v[196:197]
	v_pk_mul_f32 v[198:199], v[134:135], s[48:49] op_sel_hi:[1,0]
	s_mov_b32 s48, 0x3f7ee86f
	v_pk_fma_f32 v[196:197], v[128:129], s[10:11], v[198:199] op_sel:[0,0,1] op_sel_hi:[1,0,0]
	v_pk_fma_f32 v[198:199], v[128:129], s[10:11], v[198:199] op_sel:[0,0,1] op_sel_hi:[1,0,0] neg_lo:[0,0,1] neg_hi:[0,0,1]
	v_mov_b32_e32 v202, v196
	v_mov_b32_e32 v203, v199
	v_pk_add_f32 v[204:205], v[202:203], v[200:201]
	v_pk_mul_f32 v[202:203], v[126:127], s[36:37] op_sel_hi:[1,0]
	v_mov_b32_e32 v187, v185
	v_pk_fma_f32 v[200:201], v[120:121], s[34:35], v[202:203] op_sel:[0,0,1] op_sel_hi:[1,0,0]
	v_pk_fma_f32 v[202:203], v[120:121], s[34:35], v[202:203] op_sel:[0,0,1] op_sel_hi:[1,0,0] neg_lo:[0,0,1] neg_hi:[0,0,1]
	v_mov_b32_e32 v206, v200
	v_mov_b32_e32 v207, v203
	v_pk_add_f32 v[208:209], v[206:207], v[204:205]
	v_pk_mul_f32 v[206:207], v[114:115], s[48:49] op_sel_hi:[1,0]
	v_mov_b32_e32 v155, v153
	;; [unrolled: 7-line block ×4, first 2 shown]
	v_pk_fma_f32 v[212:213], v[96:97], s[22:23], v[214:215] op_sel:[0,0,1] op_sel_hi:[1,0,0]
	v_pk_fma_f32 v[214:215], v[96:97], s[22:23], v[214:215] op_sel:[0,0,1] op_sel_hi:[1,0,0] neg_lo:[0,0,1] neg_hi:[0,0,1]
	v_mov_b32_e32 v224, v212
	v_mov_b32_e32 v225, v215
	v_pk_add_f32 v[222:223], v[224:225], v[222:223]
	ds_write2_b64 v216, v[220:221], v[222:223] offset0:4 offset1:5
	v_pk_mul_f32 v[220:221], v[150:151], s[24:25] op_sel_hi:[1,0]
	v_pk_mul_f32 v[216:217], v[146:147], s[42:43] op_sel_hi:[1,0]
	v_pk_fma_f32 v[222:223], v[148:149], s[22:23], v[220:221] op_sel:[0,0,1] op_sel_hi:[1,0,0]
	v_pk_fma_f32 v[220:221], v[148:149], s[22:23], v[220:221] op_sel:[0,0,1] op_sel_hi:[1,0,0] neg_lo:[0,0,1] neg_hi:[0,0,1]
	v_mov_b32_e32 v224, v222
	v_mov_b32_e32 v225, v221
	v_pk_add_f32 v[224:225], v[32:33], v[224:225]
	v_pk_fma_f32 v[44:45], v[144:145], s[10:11], v[216:217] op_sel:[0,0,1] op_sel_hi:[1,0,0]
	v_pk_add_f32 v[224:225], v[230:231], v[224:225]
	v_pk_mul_f32 v[230:231], v[142:143], s[26:27] op_sel_hi:[1,0]
	v_pk_fma_f32 v[216:217], v[144:145], s[10:11], v[216:217] op_sel:[0,0,1] op_sel_hi:[1,0,0] neg_lo:[0,0,1] neg_hi:[0,0,1]
	v_pk_fma_f32 v[68:69], v[136:137], s[16:17], v[230:231] op_sel:[0,0,1] op_sel_hi:[1,0,0]
	v_pk_fma_f32 v[230:231], v[136:137], s[16:17], v[230:231] op_sel:[0,0,1] op_sel_hi:[1,0,0] neg_lo:[0,0,1] neg_hi:[0,0,1]
	v_mov_b32_e32 v234, v68
	v_mov_b32_e32 v235, v231
	v_pk_add_f32 v[224:225], v[234:235], v[224:225]
	v_pk_mul_f32 v[234:235], v[134:135], s[30:31] op_sel_hi:[1,0]
	v_mov_b32_e32 v22, v44
	v_pk_fma_f32 v[64:65], v[128:129], s[28:29], v[234:235] op_sel:[0,0,1] op_sel_hi:[1,0,0]
	v_pk_fma_f32 v[234:235], v[128:129], s[28:29], v[234:235] op_sel:[0,0,1] op_sel_hi:[1,0,0] neg_lo:[0,0,1] neg_hi:[0,0,1]
	v_mov_b32_e32 v238, v64
	v_mov_b32_e32 v239, v235
	v_pk_add_f32 v[224:225], v[238:239], v[224:225]
	v_pk_mul_f32 v[238:239], v[126:127], s[48:49] op_sel_hi:[1,0]
	v_mov_b32_e32 v23, v217
	v_pk_fma_f32 v[60:61], v[120:121], s[6:7], v[238:239] op_sel:[0,0,1] op_sel_hi:[1,0,0]
	v_pk_fma_f32 v[238:239], v[120:121], s[6:7], v[238:239] op_sel:[0,0,1] op_sel_hi:[1,0,0] neg_lo:[0,0,1] neg_hi:[0,0,1]
	v_mov_b32_e32 v242, v60
	v_mov_b32_e32 v243, v239
	v_pk_add_f32 v[224:225], v[242:243], v[224:225]
	v_pk_mul_f32 v[242:243], v[114:115], s[40:41] op_sel_hi:[1,0]
	v_pk_mul_f32 v[146:147], v[146:147], s[44:45] op_sel_hi:[1,0]
	v_pk_fma_f32 v[56:57], v[112:113], s[14:15], v[242:243] op_sel:[0,0,1] op_sel_hi:[1,0,0]
	v_pk_fma_f32 v[242:243], v[112:113], s[14:15], v[242:243] op_sel:[0,0,1] op_sel_hi:[1,0,0] neg_lo:[0,0,1] neg_hi:[0,0,1]
	v_mov_b32_e32 v246, v56
	v_mov_b32_e32 v247, v243
	v_pk_add_f32 v[224:225], v[246:247], v[224:225]
	v_pk_mul_f32 v[246:247], v[110:111], s[36:37] op_sel_hi:[1,0]
	v_mov_b32_e32 v217, v45
	v_pk_fma_f32 v[50:51], v[104:105], s[34:35], v[246:247] op_sel:[0,0,1] op_sel_hi:[1,0,0]
	v_pk_fma_f32 v[246:247], v[104:105], s[34:35], v[246:247] op_sel:[0,0,1] op_sel_hi:[1,0,0] neg_lo:[0,0,1] neg_hi:[0,0,1]
	v_mov_b32_e32 v250, v50
	v_mov_b32_e32 v251, v247
	v_pk_add_f32 v[224:225], v[250:251], v[224:225]
	v_pk_mul_f32 v[250:251], v[98:99], s[42:43] op_sel_hi:[1,0]
	v_mov_b32_e32 v221, v223
	;; [unrolled: 7-line block ×3, first 2 shown]
	v_pk_fma_f32 v[218:219], v[148:149], s[28:29], v[254:255] op_sel:[0,0,1] op_sel_hi:[1,0,0]
	v_pk_fma_f32 v[254:255], v[148:149], s[28:29], v[254:255] op_sel:[0,0,1] op_sel_hi:[1,0,0] neg_lo:[0,0,1] neg_hi:[0,0,1]
	v_mov_b32_e32 v20, v218
	v_mov_b32_e32 v21, v255
	v_pk_add_f32 v[20:21], v[32:33], v[20:21]
	v_mov_b32_e32 v255, v219
	v_pk_add_f32 v[20:21], v[22:23], v[20:21]
	v_pk_mul_f32 v[22:23], v[142:143], s[38:39] op_sel_hi:[1,0]
	v_pk_mul_f32 v[142:143], v[142:143], s[30:31] op_sel_hi:[1,0]
	v_pk_fma_f32 v[236:237], v[136:137], s[6:7], v[22:23] op_sel:[0,0,1] op_sel_hi:[1,0,0]
	v_pk_fma_f32 v[22:23], v[136:137], s[6:7], v[22:23] op_sel:[0,0,1] op_sel_hi:[1,0,0] neg_lo:[0,0,1] neg_hi:[0,0,1]
	v_mov_b32_e32 v232, v236
	v_mov_b32_e32 v233, v23
	v_pk_add_f32 v[20:21], v[232:233], v[20:21]
	v_pk_mul_f32 v[232:233], v[134:135], s[54:55] op_sel_hi:[1,0]
	v_pk_mul_f32 v[134:135], v[134:135], s[46:47] op_sel_hi:[1,0]
	v_pk_fma_f32 v[42:43], v[128:129], s[22:23], v[232:233] op_sel:[0,0,1] op_sel_hi:[1,0,0]
	v_pk_fma_f32 v[232:233], v[128:129], s[22:23], v[232:233] op_sel:[0,0,1] op_sel_hi:[1,0,0] neg_lo:[0,0,1] neg_hi:[0,0,1]
	v_mov_b32_e32 v240, v42
	;; [unrolled: 7-line block ×6, first 2 shown]
	v_mov_b32_e32 v31, v29
	v_pk_add_f32 v[20:21], v[30:31], v[20:21]
	ds_write2_b64 v59, v[224:225], v[20:21] offset0:6 offset1:7
	v_pk_mul_f32 v[20:21], v[150:151], s[36:37] op_sel_hi:[1,0]
	v_mov_b32_e32 v23, v237
	v_pk_fma_f32 v[30:31], v[148:149], s[34:35], v[20:21] op_sel:[0,0,1] op_sel_hi:[1,0,0]
	v_pk_fma_f32 v[20:21], v[148:149], s[34:35], v[20:21] op_sel:[0,0,1] op_sel_hi:[1,0,0] neg_lo:[0,0,1] neg_hi:[0,0,1]
	v_pk_fma_f32 v[148:149], v[144:145], s[16:17], v[146:147] op_sel:[0,0,1] op_sel_hi:[1,0,0]
	v_pk_fma_f32 v[144:145], v[144:145], s[16:17], v[146:147] op_sel:[0,0,1] op_sel_hi:[1,0,0] neg_lo:[0,0,1] neg_hi:[0,0,1]
	v_mov_b32_e32 v146, v30
	v_mov_b32_e32 v147, v21
	v_pk_add_f32 v[146:147], v[32:33], v[146:147]
	v_mov_b32_e32 v150, v148
	v_mov_b32_e32 v151, v145
	v_pk_add_f32 v[146:147], v[150:151], v[146:147]
	v_pk_fma_f32 v[150:151], v[136:137], s[28:29], v[142:143] op_sel:[0,0,1] op_sel_hi:[1,0,0]
	v_pk_fma_f32 v[136:137], v[136:137], s[28:29], v[142:143] op_sel:[0,0,1] op_sel_hi:[1,0,0] neg_lo:[0,0,1] neg_hi:[0,0,1]
	v_mov_b32_e32 v142, v150
	v_mov_b32_e32 v143, v137
	v_pk_add_f32 v[142:143], v[142:143], v[146:147]
	v_pk_fma_f32 v[146:147], v[128:129], s[14:15], v[134:135] op_sel:[0,0,1] op_sel_hi:[1,0,0]
	v_pk_fma_f32 v[128:129], v[128:129], s[14:15], v[134:135] op_sel:[0,0,1] op_sel_hi:[1,0,0] neg_lo:[0,0,1] neg_hi:[0,0,1]
	;; [unrolled: 5-line block ×3, first 2 shown]
	v_mov_b32_e32 v21, v31
	v_mov_b32_e32 v126, v142
	;; [unrolled: 1-line block ×4, first 2 shown]
	v_pk_add_f32 v[20:21], v[32:33], v[20:21]
	v_pk_add_f32 v[126:127], v[126:127], v[134:135]
	v_pk_fma_f32 v[134:135], v[112:113], s[10:11], v[114:115] op_sel:[0,0,1] op_sel_hi:[1,0,0]
	v_pk_fma_f32 v[112:113], v[112:113], s[10:11], v[114:115] op_sel:[0,0,1] op_sel_hi:[1,0,0] neg_lo:[0,0,1] neg_hi:[0,0,1]
	v_pk_add_f32 v[20:21], v[144:145], v[20:21]
	v_mov_b32_e32 v137, v151
	v_mov_b32_e32 v114, v134
	v_mov_b32_e32 v115, v113
	v_pk_add_f32 v[20:21], v[136:137], v[20:21]
	v_mov_b32_e32 v129, v147
	v_pk_add_f32 v[114:115], v[114:115], v[126:127]
	v_pk_fma_f32 v[126:127], v[104:105], s[18:19], v[110:111] op_sel:[0,0,1] op_sel_hi:[1,0,0]
	v_pk_fma_f32 v[104:105], v[104:105], s[18:19], v[110:111] op_sel:[0,0,1] op_sel_hi:[1,0,0] neg_lo:[0,0,1] neg_hi:[0,0,1]
	v_pk_add_f32 v[20:21], v[128:129], v[20:21]
	v_mov_b32_e32 v121, v143
	v_mov_b32_e32 v110, v126
	v_mov_b32_e32 v111, v105
	v_pk_add_f32 v[20:21], v[120:121], v[20:21]
	v_mov_b32_e32 v113, v135
	;; [unrolled: 9-line block ×3, first 2 shown]
	v_pk_add_f32 v[98:99], v[98:99], v[110:111]
	v_pk_add_f32 v[20:21], v[96:97], v[20:21]
	ds_write2_b64 v59, v[98:99], v[20:21] offset0:8 offset1:9
	v_pk_add_f32 v[20:21], v[32:33], v[254:255]
	v_mov_b32_e32 v233, v43
	v_pk_add_f32 v[20:21], v[216:217], v[20:21]
	v_mov_b32_e32 v235, v65
	v_pk_add_f32 v[20:21], v[22:23], v[20:21]
	v_pk_add_f32 v[22:23], v[32:33], v[220:221]
	;; [unrolled: 1-line block ×4, first 2 shown]
	v_mov_b32_e32 v241, v41
	v_pk_add_f32 v[22:23], v[230:231], v[22:23]
	v_mov_b32_e32 v239, v61
	v_pk_add_f32 v[22:23], v[234:235], v[22:23]
	v_pk_add_f32 v[20:21], v[240:241], v[20:21]
	v_mov_b32_e32 v25, v39
	v_pk_add_f32 v[22:23], v[238:239], v[22:23]
	v_mov_b32_e32 v243, v57
	;; [unrolled: 2-line block ×6, first 2 shown]
	v_pk_add_f32 v[20:21], v[28:29], v[20:21]
	v_pk_add_f32 v[22:23], v[250:251], v[22:23]
	ds_write2_b64 v59, v[20:21], v[22:23] offset0:10 offset1:11
	v_pk_add_f32 v[20:21], v[32:33], v[186:187]
	v_pk_add_f32 v[22:23], v[32:33], v[154:155]
	;; [unrolled: 1-line block ×3, first 2 shown]
	v_mov_b32_e32 v195, v193
	v_pk_add_f32 v[22:23], v[158:159], v[22:23]
	v_mov_b32_e32 v163, v161
	v_pk_add_f32 v[20:21], v[194:195], v[20:21]
	;; [unrolled: 2-line block ×12, first 2 shown]
	v_pk_add_f32 v[22:23], v[182:183], v[22:23]
	v_mov_b32_e32 v30, v59
	ds_write2_b64 v59, v[20:21], v[22:23] offset0:12 offset1:13
	v_mov_b32_e32 v91, v89
	v_mov_b32_e32 v59, v53
	v_pk_add_f32 v[20:21], v[32:33], v[90:91]
	v_mov_b32_e32 v95, v93
	v_pk_add_f32 v[22:23], v[32:33], v[58:59]
	;; [unrolled: 2-line block ×15, first 2 shown]
	v_pk_add_f32 v[22:23], v[86:87], v[22:23]
	ds_write2_b64 v30, v[20:21], v[22:23] offset0:14 offset1:15
	v_accvgpr_read_b32 v20, a0
	v_accvgpr_read_b32 v21, a1
	v_pk_add_f32 v[20:21], v[32:33], v[20:21]
	v_accvgpr_read_b32 v22, a2
	v_accvgpr_read_b32 v23, a3
	v_pk_add_f32 v[20:21], v[22:23], v[20:21]
	v_accvgpr_read_b32 v253, a5
	v_pk_add_f32 v[20:21], v[252:253], v[20:21]
	;; [unrolled: 2-line block ×4, first 2 shown]
	v_accvgpr_read_b32 v53, a11
	v_mov_b32_e32 v177, v49
	v_pk_add_f32 v[20:21], v[52:53], v[20:21]
	v_accvgpr_read_b32 v49, a13
	v_pk_add_f32 v[20:21], v[48:49], v[20:21]
	v_accvgpr_read_b32 v55, a15
	v_mov_b32_e32 v182, v76
	v_pk_add_f32 v[20:21], v[54:55], v[20:21]
	ds_write_b64 v30, v[20:21] offset:128
.LBB0_13:
	s_or_b64 exec, exec, s[4:5]
	s_waitcnt lgkmcnt(0)
	s_barrier
	ds_read2_b64 v[24:27], v229 offset0:34 offset1:51
	ds_read2_b64 v[20:23], v229 offset1:17
	ds_read2_b64 v[28:31], v229 offset0:68 offset1:85
	ds_read2_b64 v[32:35], v229 offset0:102 offset1:119
	;; [unrolled: 1-line block ×3, first 2 shown]
	ds_read_b64 v[40:41], v229 offset:1360
	s_waitcnt lgkmcnt(5)
	v_pk_mul_f32 v[42:43], v[2:3], v[24:25] op_sel:[1,0]
	s_mov_b32 s16, 0xbf0a6770
	v_pk_fma_f32 v[44:45], v[2:3], v[24:25], v[42:43] op_sel:[0,0,1] op_sel_hi:[1,1,0]
	v_pk_fma_f32 v[2:3], v[2:3], v[24:25], v[42:43] op_sel:[0,0,1] op_sel_hi:[0,1,0] neg_lo:[0,0,1] neg_hi:[0,0,1]
	v_mov_b32_e32 v45, v3
	v_pk_mul_f32 v[2:3], v[12:13], v[26:27] op_sel:[1,0]
	s_mov_b32 s4, 0x3f575c64
	v_pk_fma_f32 v[24:25], v[12:13], v[26:27], v[2:3] op_sel:[0,0,1] op_sel_hi:[1,1,0]
	v_pk_fma_f32 v[2:3], v[12:13], v[26:27], v[2:3] op_sel:[0,0,1] op_sel_hi:[0,1,0] neg_lo:[0,0,1] neg_hi:[0,0,1]
	v_mov_b32_e32 v25, v3
	s_waitcnt lgkmcnt(3)
	v_pk_mul_f32 v[2:3], v[14:15], v[28:29] op_sel:[1,0]
	s_mov_b32 s26, 0xbf68dda4
	v_pk_fma_f32 v[12:13], v[14:15], v[28:29], v[2:3] op_sel:[0,0,1] op_sel_hi:[1,1,0]
	v_pk_fma_f32 v[2:3], v[14:15], v[28:29], v[2:3] op_sel:[0,0,1] op_sel_hi:[0,1,0] neg_lo:[0,0,1] neg_hi:[0,0,1]
	v_mov_b32_e32 v13, v3
	v_pk_mul_f32 v[2:3], v[8:9], v[30:31] op_sel:[1,0]
	s_mov_b32 s6, 0x3ed4b147
	v_pk_fma_f32 v[14:15], v[8:9], v[30:31], v[2:3] op_sel:[0,0,1] op_sel_hi:[1,1,0]
	v_pk_fma_f32 v[2:3], v[8:9], v[30:31], v[2:3] op_sel:[0,0,1] op_sel_hi:[0,1,0] neg_lo:[0,0,1] neg_hi:[0,0,1]
	v_mov_b32_e32 v15, v3
	;; [unrolled: 11-line block ×4, first 2 shown]
	s_waitcnt lgkmcnt(0)
	v_pk_mul_f32 v[2:3], v[18:19], v[40:41] op_sel:[1,0]
	v_pk_add_f32 v[28:29], v[44:45], v[6:7]
	v_pk_fma_f32 v[16:17], v[18:19], v[40:41], v[2:3] op_sel:[0,0,1] op_sel_hi:[1,1,0]
	v_pk_fma_f32 v[2:3], v[18:19], v[40:41], v[2:3] op_sel:[0,0,1] op_sel_hi:[0,1,0] neg_lo:[0,0,1] neg_hi:[0,0,1]
	v_mov_b32_e32 v17, v3
	v_pk_mul_f32 v[2:3], v[0:1], v[22:23] op_sel:[1,0]
	s_mov_b32 s24, 0xbe903f40
	v_pk_fma_f32 v[18:19], v[0:1], v[22:23], v[2:3] op_sel:[0,0,1] op_sel_hi:[1,1,0]
	v_pk_fma_f32 v[0:1], v[0:1], v[22:23], v[2:3] op_sel:[0,0,1] op_sel_hi:[0,1,0] neg_lo:[0,0,1] neg_hi:[0,0,1]
	v_mov_b32_e32 v19, v1
	v_pk_add_f32 v[0:1], v[20:21], v[18:19]
	v_pk_add_f32 v[2:3], v[18:19], v[16:17]
	;; [unrolled: 1-line block ×3, first 2 shown]
	s_mov_b32 s22, 0xbf75a155
	v_pk_add_f32 v[0:1], v[0:1], v[24:25]
	s_mov_b32 s28, 0x3f7d64f0
	v_pk_add_f32 v[0:1], v[0:1], v[12:13]
	;; [unrolled: 2-line block ×3, first 2 shown]
	s_nop 0
	v_pk_add_f32 v[0:1], v[0:1], v[8:9]
	s_nop 0
	v_pk_add_f32 v[0:1], v[0:1], v[10:11]
	s_nop 0
	v_pk_add_f32 v[0:1], v[0:1], v[4:5]
	s_nop 0
	v_pk_add_f32 v[0:1], v[0:1], v[6:7]
	v_pk_add_f32 v[6:7], v[44:45], v[6:7] neg_lo:[0,1] neg_hi:[0,1]
	v_pk_add_f32 v[0:1], v[0:1], v[16:17]
	v_pk_add_f32 v[16:17], v[18:19], v[16:17] neg_lo:[0,1] neg_hi:[0,1]
	v_pk_mul_f32 v[30:31], v[6:7], s[26:27] op_sel_hi:[1,0]
	v_pk_mul_f32 v[18:19], v[16:17], s[16:17] op_sel_hi:[1,0]
	v_pk_fma_f32 v[32:33], v[28:29], s[6:7], v[30:31] op_sel:[0,0,1] op_sel_hi:[1,0,0]
	v_pk_fma_f32 v[22:23], v[2:3], s[4:5], v[18:19] op_sel:[0,0,1] op_sel_hi:[1,0,0]
	v_pk_fma_f32 v[18:19], v[2:3], s[4:5], v[18:19] op_sel:[0,0,1] op_sel_hi:[1,0,0] neg_lo:[0,0,1] neg_hi:[0,0,1]
	v_mov_b32_e32 v26, v22
	v_mov_b32_e32 v27, v19
	v_pk_fma_f32 v[30:31], v[28:29], s[6:7], v[30:31] op_sel:[0,0,1] op_sel_hi:[1,0,0] neg_lo:[0,0,1] neg_hi:[0,0,1]
	v_pk_add_f32 v[26:27], v[20:21], v[26:27]
	v_mov_b32_e32 v34, v32
	v_mov_b32_e32 v35, v31
	v_pk_add_f32 v[26:27], v[34:35], v[26:27]
	v_pk_add_f32 v[34:35], v[24:25], v[4:5]
	v_pk_add_f32 v[4:5], v[24:25], v[4:5] neg_lo:[0,1] neg_hi:[0,1]
	v_pk_mul_f32 v[48:49], v[6:7], s[20:21] op_sel_hi:[1,0]
	v_pk_mul_f32 v[24:25], v[4:5], s[14:15] op_sel_hi:[1,0]
	v_pk_fma_f32 v[50:51], v[28:29], s[18:19], v[48:49] op_sel:[0,0,1] op_sel_hi:[1,0,0]
	v_pk_fma_f32 v[36:37], v[34:35], s[10:11], v[24:25] op_sel:[0,0,1] op_sel_hi:[1,0,0]
	v_pk_fma_f32 v[24:25], v[34:35], s[10:11], v[24:25] op_sel:[0,0,1] op_sel_hi:[1,0,0] neg_lo:[0,0,1] neg_hi:[0,0,1]
	v_mov_b32_e32 v38, v36
	v_mov_b32_e32 v39, v25
	v_pk_add_f32 v[26:27], v[38:39], v[26:27]
	v_pk_add_f32 v[38:39], v[12:13], v[10:11]
	v_pk_add_f32 v[10:11], v[12:13], v[10:11] neg_lo:[0,1] neg_hi:[0,1]
	v_pk_fma_f32 v[48:49], v[28:29], s[18:19], v[48:49] op_sel:[0,0,1] op_sel_hi:[1,0,0] neg_lo:[0,0,1] neg_hi:[0,0,1]
	v_pk_mul_f32 v[12:13], v[10:11], s[20:21] op_sel_hi:[1,0]
	v_mov_b32_e32 v52, v50
	v_pk_fma_f32 v[40:41], v[38:39], s[18:19], v[12:13] op_sel:[0,0,1] op_sel_hi:[1,0,0]
	v_pk_fma_f32 v[12:13], v[38:39], s[18:19], v[12:13] op_sel:[0,0,1] op_sel_hi:[1,0,0] neg_lo:[0,0,1] neg_hi:[0,0,1]
	v_mov_b32_e32 v42, v40
	v_mov_b32_e32 v43, v13
	v_pk_add_f32 v[26:27], v[42:43], v[26:27]
	v_pk_add_f32 v[42:43], v[14:15], v[8:9]
	v_pk_add_f32 v[8:9], v[14:15], v[8:9] neg_lo:[0,1] neg_hi:[0,1]
	v_mov_b32_e32 v53, v49
	v_pk_mul_f32 v[14:15], v[8:9], s[24:25] op_sel_hi:[1,0]
	v_pk_mul_f32 v[88:89], v[6:7], s[28:29] op_sel_hi:[1,0]
	v_pk_fma_f32 v[44:45], v[42:43], s[22:23], v[14:15] op_sel:[0,0,1] op_sel_hi:[1,0,0]
	v_pk_fma_f32 v[14:15], v[42:43], s[22:23], v[14:15] op_sel:[0,0,1] op_sel_hi:[1,0,0] neg_lo:[0,0,1] neg_hi:[0,0,1]
	v_mov_b32_e32 v46, v44
	v_mov_b32_e32 v47, v15
	v_pk_add_f32 v[26:27], v[46:47], v[26:27]
	ds_write2_b64 v228, v[0:1], v[26:27] offset1:17
	v_pk_mul_f32 v[0:1], v[16:17], s[26:27] op_sel_hi:[1,0]
	s_mov_b32 s26, 0x3e903f40
	v_pk_fma_f32 v[26:27], v[2:3], s[6:7], v[0:1] op_sel:[0,0,1] op_sel_hi:[1,0,0]
	v_pk_fma_f32 v[0:1], v[2:3], s[6:7], v[0:1] op_sel:[0,0,1] op_sel_hi:[1,0,0] neg_lo:[0,0,1] neg_hi:[0,0,1]
	v_mov_b32_e32 v46, v26
	v_mov_b32_e32 v47, v1
	v_pk_add_f32 v[46:47], v[20:21], v[46:47]
	v_pk_mul_f32 v[70:71], v[6:7], s[26:27] op_sel_hi:[1,0]
	v_pk_add_f32 v[46:47], v[52:53], v[46:47]
	v_pk_mul_f32 v[52:53], v[4:5], s[26:27] op_sel_hi:[1,0]
	v_pk_fma_f32 v[72:73], v[28:29], s[22:23], v[70:71] op_sel:[0,0,1] op_sel_hi:[1,0,0]
	v_pk_fma_f32 v[54:55], v[34:35], s[22:23], v[52:53] op_sel:[0,0,1] op_sel_hi:[1,0,0]
	v_pk_fma_f32 v[52:53], v[34:35], s[22:23], v[52:53] op_sel:[0,0,1] op_sel_hi:[1,0,0] neg_lo:[0,0,1] neg_hi:[0,0,1]
	v_mov_b32_e32 v56, v54
	v_mov_b32_e32 v57, v53
	v_pk_add_f32 v[46:47], v[56:57], v[46:47]
	v_pk_mul_f32 v[56:57], v[10:11], s[28:29] op_sel_hi:[1,0]
	v_pk_fma_f32 v[70:71], v[28:29], s[22:23], v[70:71] op_sel:[0,0,1] op_sel_hi:[1,0,0] neg_lo:[0,0,1] neg_hi:[0,0,1]
	v_pk_fma_f32 v[58:59], v[38:39], s[10:11], v[56:57] op_sel:[0,0,1] op_sel_hi:[1,0,0]
	v_pk_fma_f32 v[56:57], v[38:39], s[10:11], v[56:57] op_sel:[0,0,1] op_sel_hi:[1,0,0] neg_lo:[0,0,1] neg_hi:[0,0,1]
	v_mov_b32_e32 v60, v58
	v_mov_b32_e32 v61, v57
	v_pk_add_f32 v[46:47], v[60:61], v[46:47]
	v_pk_mul_f32 v[60:61], v[8:9], s[30:31] op_sel_hi:[1,0]
	v_mov_b32_e32 v74, v72
	v_pk_fma_f32 v[62:63], v[42:43], s[4:5], v[60:61] op_sel:[0,0,1] op_sel_hi:[1,0,0]
	v_pk_fma_f32 v[60:61], v[42:43], s[4:5], v[60:61] op_sel:[0,0,1] op_sel_hi:[1,0,0] neg_lo:[0,0,1] neg_hi:[0,0,1]
	v_mov_b32_e32 v64, v62
	v_mov_b32_e32 v65, v61
	v_pk_add_f32 v[46:47], v[64:65], v[46:47]
	v_pk_mul_f32 v[64:65], v[16:17], s[14:15] op_sel_hi:[1,0]
	v_mov_b32_e32 v75, v71
	v_pk_fma_f32 v[66:67], v[2:3], s[10:11], v[64:65] op_sel:[0,0,1] op_sel_hi:[1,0,0]
	v_pk_fma_f32 v[64:65], v[2:3], s[10:11], v[64:65] op_sel:[0,0,1] op_sel_hi:[1,0,0] neg_lo:[0,0,1] neg_hi:[0,0,1]
	v_mov_b32_e32 v68, v66
	v_mov_b32_e32 v69, v65
	v_pk_add_f32 v[68:69], v[20:21], v[68:69]
	s_mov_b32 s26, 0x3f68dda4
	v_pk_add_f32 v[68:69], v[74:75], v[68:69]
	v_pk_mul_f32 v[74:75], v[4:5], s[26:27] op_sel_hi:[1,0]
	v_pk_fma_f32 v[90:91], v[28:29], s[10:11], v[88:89] op_sel:[0,0,1] op_sel_hi:[1,0,0]
	v_pk_fma_f32 v[76:77], v[34:35], s[6:7], v[74:75] op_sel:[0,0,1] op_sel_hi:[1,0,0]
	v_pk_fma_f32 v[74:75], v[34:35], s[6:7], v[74:75] op_sel:[0,0,1] op_sel_hi:[1,0,0] neg_lo:[0,0,1] neg_hi:[0,0,1]
	v_mov_b32_e32 v78, v76
	v_mov_b32_e32 v79, v75
	v_pk_add_f32 v[68:69], v[78:79], v[68:69]
	v_pk_mul_f32 v[78:79], v[10:11], s[16:17] op_sel_hi:[1,0]
	v_pk_fma_f32 v[88:89], v[28:29], s[10:11], v[88:89] op_sel:[0,0,1] op_sel_hi:[1,0,0] neg_lo:[0,0,1] neg_hi:[0,0,1]
	v_pk_fma_f32 v[80:81], v[38:39], s[4:5], v[78:79] op_sel:[0,0,1] op_sel_hi:[1,0,0]
	v_pk_fma_f32 v[78:79], v[38:39], s[4:5], v[78:79] op_sel:[0,0,1] op_sel_hi:[1,0,0] neg_lo:[0,0,1] neg_hi:[0,0,1]
	v_mov_b32_e32 v82, v80
	v_mov_b32_e32 v83, v79
	v_pk_add_f32 v[68:69], v[82:83], v[68:69]
	v_pk_mul_f32 v[82:83], v[8:9], s[20:21] op_sel_hi:[1,0]
	v_mov_b32_e32 v92, v90
	v_pk_fma_f32 v[84:85], v[42:43], s[18:19], v[82:83] op_sel:[0,0,1] op_sel_hi:[1,0,0]
	v_pk_fma_f32 v[82:83], v[42:43], s[18:19], v[82:83] op_sel:[0,0,1] op_sel_hi:[1,0,0] neg_lo:[0,0,1] neg_hi:[0,0,1]
	v_mov_b32_e32 v86, v84
	v_mov_b32_e32 v87, v83
	v_pk_add_f32 v[68:69], v[86:87], v[68:69]
	ds_write2_b64 v228, v[46:47], v[68:69] offset0:34 offset1:51
	v_pk_mul_f32 v[46:47], v[16:17], s[20:21] op_sel_hi:[1,0]
	v_mov_b32_e32 v93, v89
	v_pk_fma_f32 v[68:69], v[2:3], s[18:19], v[46:47] op_sel:[0,0,1] op_sel_hi:[1,0,0]
	v_pk_fma_f32 v[46:47], v[2:3], s[18:19], v[46:47] op_sel:[0,0,1] op_sel_hi:[1,0,0] neg_lo:[0,0,1] neg_hi:[0,0,1]
	v_mov_b32_e32 v86, v68
	v_mov_b32_e32 v87, v47
	v_pk_add_f32 v[86:87], v[20:21], v[86:87]
	v_pk_mul_f32 v[16:17], v[16:17], s[24:25] op_sel_hi:[1,0]
	v_pk_add_f32 v[86:87], v[92:93], v[86:87]
	v_pk_mul_f32 v[92:93], v[4:5], s[16:17] op_sel_hi:[1,0]
	v_pk_mul_f32 v[6:7], v[6:7], s[30:31] op_sel_hi:[1,0]
	v_pk_fma_f32 v[94:95], v[34:35], s[4:5], v[92:93] op_sel:[0,0,1] op_sel_hi:[1,0,0]
	v_pk_fma_f32 v[92:93], v[34:35], s[4:5], v[92:93] op_sel:[0,0,1] op_sel_hi:[1,0,0] neg_lo:[0,0,1] neg_hi:[0,0,1]
	v_mov_b32_e32 v96, v94
	v_mov_b32_e32 v97, v93
	v_pk_add_f32 v[86:87], v[96:97], v[86:87]
	v_pk_mul_f32 v[96:97], v[10:11], s[24:25] op_sel_hi:[1,0]
	v_pk_fma_f32 v[106:107], v[28:29], s[4:5], v[6:7] op_sel:[0,0,1] op_sel_hi:[1,0,0]
	v_pk_fma_f32 v[98:99], v[38:39], s[22:23], v[96:97] op_sel:[0,0,1] op_sel_hi:[1,0,0]
	v_pk_fma_f32 v[96:97], v[38:39], s[22:23], v[96:97] op_sel:[0,0,1] op_sel_hi:[1,0,0] neg_lo:[0,0,1] neg_hi:[0,0,1]
	v_mov_b32_e32 v100, v98
	v_mov_b32_e32 v101, v97
	v_pk_add_f32 v[86:87], v[100:101], v[86:87]
	v_pk_mul_f32 v[100:101], v[8:9], s[26:27] op_sel_hi:[1,0]
	v_pk_fma_f32 v[6:7], v[28:29], s[4:5], v[6:7] op_sel:[0,0,1] op_sel_hi:[1,0,0] neg_lo:[0,0,1] neg_hi:[0,0,1]
	v_pk_fma_f32 v[102:103], v[42:43], s[6:7], v[100:101] op_sel:[0,0,1] op_sel_hi:[1,0,0]
	v_pk_fma_f32 v[100:101], v[42:43], s[6:7], v[100:101] op_sel:[0,0,1] op_sel_hi:[1,0,0] neg_lo:[0,0,1] neg_hi:[0,0,1]
	v_mov_b32_e32 v104, v102
	v_mov_b32_e32 v105, v101
	v_pk_add_f32 v[86:87], v[104:105], v[86:87]
	v_pk_fma_f32 v[104:105], v[2:3], s[22:23], v[16:17] op_sel:[0,0,1] op_sel_hi:[1,0,0]
	v_pk_fma_f32 v[2:3], v[2:3], s[22:23], v[16:17] op_sel:[0,0,1] op_sel_hi:[1,0,0] neg_lo:[0,0,1] neg_hi:[0,0,1]
	v_mov_b32_e32 v16, v104
	v_mov_b32_e32 v17, v3
	v_pk_add_f32 v[16:17], v[20:21], v[16:17]
	v_mov_b32_e32 v28, v106
	v_mov_b32_e32 v29, v7
	v_pk_mul_f32 v[4:5], v[4:5], s[20:21] op_sel_hi:[1,0]
	v_mov_b32_e32 v3, v105
	v_pk_add_f32 v[16:17], v[28:29], v[16:17]
	v_pk_fma_f32 v[28:29], v[34:35], s[18:19], v[4:5] op_sel:[0,0,1] op_sel_hi:[1,0,0]
	v_pk_fma_f32 v[4:5], v[34:35], s[18:19], v[4:5] op_sel:[0,0,1] op_sel_hi:[1,0,0] neg_lo:[0,0,1] neg_hi:[0,0,1]
	v_pk_add_f32 v[2:3], v[20:21], v[2:3]
	v_mov_b32_e32 v7, v107
	v_mov_b32_e32 v34, v28
	;; [unrolled: 1-line block ×3, first 2 shown]
	v_pk_mul_f32 v[10:11], v[10:11], s[26:27] op_sel_hi:[1,0]
	v_pk_add_f32 v[2:3], v[6:7], v[2:3]
	v_mov_b32_e32 v5, v29
	v_mov_b32_e32 v47, v69
	v_pk_add_f32 v[16:17], v[34:35], v[16:17]
	v_pk_fma_f32 v[34:35], v[38:39], s[6:7], v[10:11] op_sel:[0,0,1] op_sel_hi:[1,0,0]
	v_pk_fma_f32 v[10:11], v[38:39], s[6:7], v[10:11] op_sel:[0,0,1] op_sel_hi:[1,0,0] neg_lo:[0,0,1] neg_hi:[0,0,1]
	v_pk_add_f32 v[2:3], v[4:5], v[2:3]
	v_pk_add_f32 v[4:5], v[20:21], v[46:47]
	v_mov_b32_e32 v89, v91
	v_mov_b32_e32 v38, v34
	;; [unrolled: 1-line block ×3, first 2 shown]
	v_pk_mul_f32 v[8:9], v[8:9], s[14:15] op_sel_hi:[1,0]
	v_pk_add_f32 v[4:5], v[88:89], v[4:5]
	v_mov_b32_e32 v93, v95
	v_pk_add_f32 v[16:17], v[38:39], v[16:17]
	v_pk_fma_f32 v[38:39], v[42:43], s[10:11], v[8:9] op_sel:[0,0,1] op_sel_hi:[1,0,0]
	v_pk_fma_f32 v[8:9], v[42:43], s[10:11], v[8:9] op_sel:[0,0,1] op_sel_hi:[1,0,0] neg_lo:[0,0,1] neg_hi:[0,0,1]
	v_mov_b32_e32 v11, v35
	v_pk_add_f32 v[4:5], v[92:93], v[4:5]
	v_mov_b32_e32 v97, v99
	v_mov_b32_e32 v43, v9
	v_pk_add_f32 v[2:3], v[10:11], v[2:3]
	v_mov_b32_e32 v9, v39
	v_pk_add_f32 v[4:5], v[96:97], v[4:5]
	;; [unrolled: 2-line block ×3, first 2 shown]
	v_pk_add_f32 v[4:5], v[100:101], v[4:5]
	v_mov_b32_e32 v65, v67
	v_mov_b32_e32 v1, v27
	ds_write2_b64 v228, v[2:3], v[4:5] offset0:102 offset1:119
	v_pk_add_f32 v[2:3], v[20:21], v[64:65]
	v_mov_b32_e32 v71, v73
	v_pk_add_f32 v[0:1], v[20:21], v[0:1]
	v_mov_b32_e32 v49, v51
	;; [unrolled: 2-line block ×8, first 2 shown]
	v_pk_add_f32 v[2:3], v[82:83], v[2:3]
	v_pk_add_f32 v[0:1], v[60:61], v[0:1]
	v_mov_b32_e32 v19, v23
	ds_write2_b64 v228, v[2:3], v[0:1] offset0:136 offset1:153
	v_pk_add_f32 v[0:1], v[20:21], v[18:19]
	v_mov_b32_e32 v31, v33
	v_pk_add_f32 v[0:1], v[30:31], v[0:1]
	v_mov_b32_e32 v25, v37
	;; [unrolled: 2-line block ×3, first 2 shown]
	v_mov_b32_e32 v42, v38
	v_pk_add_f32 v[0:1], v[12:13], v[0:1]
	v_mov_b32_e32 v15, v45
	v_pk_add_f32 v[16:17], v[42:43], v[16:17]
	v_pk_add_f32 v[0:1], v[14:15], v[0:1]
	ds_write2_b64 v228, v[86:87], v[16:17] offset0:68 offset1:85
	ds_write_b64 v228, v[0:1] offset:1360
	s_waitcnt lgkmcnt(0)
	s_barrier
	s_and_b64 exec, exec, vcc
	s_cbranch_execz .LBB0_15
; %bb.14:
	global_load_dwordx2 v[2:3], v177, s[8:9]
	ds_read_b64 v[6:7], v228
	v_mad_u64_u32 v[4:5], s[4:5], s2, v182, 0
	v_mov_b32_e32 v10, v5
	v_mad_u64_u32 v[10:11], s[2:3], s3, v182, v[10:11]
	v_mov_b32_e32 v0, s12
	v_mov_b32_e32 v1, s13
	;; [unrolled: 1-line block ×3, first 2 shown]
	v_mad_u64_u32 v[8:9], s[6:7], s0, v176, 0
	v_lshl_add_u64 v[0:1], v[4:5], 3, v[0:1]
	s_mov_b32 s4, 0xb8d015e7
	v_mov_b32_e32 v12, v9
	s_mov_b32 s5, 0x3f75e75b
	v_mad_u64_u32 v[12:13], s[2:3], s1, v176, v[12:13]
	v_mov_b32_e32 v9, v12
	v_lshl_add_u64 v[8:9], v[8:9], 3, v[0:1]
	v_mov_b32_e32 v10, 0x58
	s_mul_i32 s2, s1, 0x58
	s_waitcnt vmcnt(0) lgkmcnt(0)
	v_mul_f32_e32 v4, v7, v3
	v_mul_f32_e32 v3, v6, v3
	v_fmac_f32_e32 v4, v6, v2
	v_fma_f32 v5, v2, v7, -v3
	v_cvt_f64_f32_e32 v[2:3], v4
	v_cvt_f64_f32_e32 v[4:5], v5
	v_mul_f64 v[2:3], v[2:3], s[4:5]
	v_mul_f64 v[4:5], v[4:5], s[4:5]
	v_cvt_f32_f64_e32 v2, v[2:3]
	v_cvt_f32_f64_e32 v3, v[4:5]
	global_store_dwordx2 v[8:9], v[2:3], off
	global_load_dwordx2 v[6:7], v177, s[8:9] offset:88
	ds_read2_b64 v[2:5], v228 offset0:11 offset1:22
	v_mad_u64_u32 v[8:9], s[6:7], s0, v10, v[8:9]
	v_add_u32_e32 v9, s2, v9
	s_waitcnt vmcnt(0) lgkmcnt(0)
	v_mul_f32_e32 v11, v3, v7
	v_mul_f32_e32 v7, v2, v7
	v_fmac_f32_e32 v11, v2, v6
	v_fma_f32 v6, v6, v3, -v7
	v_cvt_f64_f32_e32 v[2:3], v11
	v_cvt_f64_f32_e32 v[6:7], v6
	v_mul_f64 v[2:3], v[2:3], s[4:5]
	v_mul_f64 v[6:7], v[6:7], s[4:5]
	v_cvt_f32_f64_e32 v2, v[2:3]
	v_cvt_f32_f64_e32 v3, v[6:7]
	global_store_dwordx2 v[8:9], v[2:3], off
	global_load_dwordx2 v[2:3], v177, s[8:9] offset:176
	v_mad_u64_u32 v[6:7], s[6:7], s0, v10, v[8:9]
	v_add_u32_e32 v7, s2, v7
	s_waitcnt vmcnt(0)
	v_mul_f32_e32 v8, v5, v3
	v_mul_f32_e32 v3, v4, v3
	v_fmac_f32_e32 v8, v4, v2
	v_fma_f32 v4, v2, v5, -v3
	v_cvt_f64_f32_e32 v[2:3], v8
	v_cvt_f64_f32_e32 v[4:5], v4
	v_mul_f64 v[2:3], v[2:3], s[4:5]
	v_mul_f64 v[4:5], v[4:5], s[4:5]
	v_cvt_f32_f64_e32 v2, v[2:3]
	v_cvt_f32_f64_e32 v3, v[4:5]
	global_store_dwordx2 v[6:7], v[2:3], off
	global_load_dwordx2 v[8:9], v177, s[8:9] offset:264
	ds_read2_b64 v[2:5], v228 offset0:33 offset1:44
	v_mad_u64_u32 v[6:7], s[6:7], s0, v10, v[6:7]
	v_add_u32_e32 v7, s2, v7
	s_waitcnt vmcnt(0) lgkmcnt(0)
	v_mul_f32_e32 v11, v3, v9
	v_mul_f32_e32 v9, v2, v9
	v_fmac_f32_e32 v11, v2, v8
	v_fma_f32 v8, v8, v3, -v9
	v_cvt_f64_f32_e32 v[2:3], v11
	v_cvt_f64_f32_e32 v[8:9], v8
	v_mul_f64 v[2:3], v[2:3], s[4:5]
	v_mul_f64 v[8:9], v[8:9], s[4:5]
	v_cvt_f32_f64_e32 v2, v[2:3]
	v_cvt_f32_f64_e32 v3, v[8:9]
	global_store_dwordx2 v[6:7], v[2:3], off
	global_load_dwordx2 v[2:3], v177, s[8:9] offset:352
	v_mad_u64_u32 v[6:7], s[6:7], s0, v10, v[6:7]
	v_add_u32_e32 v7, s2, v7
	s_waitcnt vmcnt(0)
	;; [unrolled: 31-line block ×7, first 2 shown]
	v_mul_f32_e32 v8, v5, v3
	v_mul_f32_e32 v3, v4, v3
	v_fmac_f32_e32 v8, v4, v2
	v_fma_f32 v4, v2, v5, -v3
	v_cvt_f64_f32_e32 v[2:3], v8
	v_cvt_f64_f32_e32 v[4:5], v4
	v_mul_f64 v[2:3], v[2:3], s[4:5]
	v_mul_f64 v[4:5], v[4:5], s[4:5]
	v_cvt_f32_f64_e32 v2, v[2:3]
	v_cvt_f32_f64_e32 v3, v[4:5]
	global_store_dwordx2 v[6:7], v[2:3], off
	global_load_dwordx2 v[8:9], v177, s[8:9] offset:1320
	ds_read2_b64 v[2:5], v228 offset0:165 offset1:176
	v_mad_u64_u32 v[6:7], s[6:7], s0, v10, v[6:7]
	v_add_u32_e32 v7, s2, v7
	s_waitcnt vmcnt(0) lgkmcnt(0)
	v_mul_f32_e32 v10, v3, v9
	v_mul_f32_e32 v9, v2, v9
	v_fmac_f32_e32 v10, v2, v8
	v_fma_f32 v8, v8, v3, -v9
	v_cvt_f64_f32_e32 v[2:3], v10
	v_cvt_f64_f32_e32 v[8:9], v8
	v_mul_f64 v[2:3], v[2:3], s[4:5]
	v_mul_f64 v[8:9], v[8:9], s[4:5]
	v_cvt_f32_f64_e32 v2, v[2:3]
	v_cvt_f32_f64_e32 v3, v[8:9]
	global_store_dwordx2 v[6:7], v[2:3], off
	global_load_dwordx2 v[2:3], v177, s[8:9] offset:1408
	v_or_b32_e32 v9, 0xb0, v176
	v_mad_u64_u32 v[6:7], s[2:3], s0, v9, 0
	v_mov_b32_e32 v8, v7
	v_mad_u64_u32 v[8:9], s[0:1], s1, v9, v[8:9]
	v_mov_b32_e32 v7, v8
	v_lshl_add_u64 v[0:1], v[6:7], 3, v[0:1]
	s_waitcnt vmcnt(0)
	v_mul_f32_e32 v8, v5, v3
	v_mul_f32_e32 v3, v4, v3
	v_fmac_f32_e32 v8, v4, v2
	v_fma_f32 v4, v2, v5, -v3
	v_cvt_f64_f32_e32 v[2:3], v8
	v_cvt_f64_f32_e32 v[4:5], v4
	v_mul_f64 v[2:3], v[2:3], s[4:5]
	v_mul_f64 v[4:5], v[4:5], s[4:5]
	v_cvt_f32_f64_e32 v2, v[2:3]
	v_cvt_f32_f64_e32 v3, v[4:5]
	global_store_dwordx2 v[0:1], v[2:3], off
.LBB0_15:
	s_endpgm
	.section	.rodata,"a",@progbits
	.p2align	6, 0x0
	.amdhsa_kernel bluestein_single_back_len187_dim1_sp_op_CI_CI
		.amdhsa_group_segment_fixed_size 10472
		.amdhsa_private_segment_fixed_size 0
		.amdhsa_kernarg_size 104
		.amdhsa_user_sgpr_count 2
		.amdhsa_user_sgpr_dispatch_ptr 0
		.amdhsa_user_sgpr_queue_ptr 0
		.amdhsa_user_sgpr_kernarg_segment_ptr 1
		.amdhsa_user_sgpr_dispatch_id 0
		.amdhsa_user_sgpr_kernarg_preload_length 0
		.amdhsa_user_sgpr_kernarg_preload_offset 0
		.amdhsa_user_sgpr_private_segment_size 0
		.amdhsa_uses_dynamic_stack 0
		.amdhsa_enable_private_segment 0
		.amdhsa_system_sgpr_workgroup_id_x 1
		.amdhsa_system_sgpr_workgroup_id_y 0
		.amdhsa_system_sgpr_workgroup_id_z 0
		.amdhsa_system_sgpr_workgroup_info 0
		.amdhsa_system_vgpr_workitem_id 0
		.amdhsa_next_free_vgpr 276
		.amdhsa_next_free_sgpr 62
		.amdhsa_accum_offset 256
		.amdhsa_reserve_vcc 1
		.amdhsa_float_round_mode_32 0
		.amdhsa_float_round_mode_16_64 0
		.amdhsa_float_denorm_mode_32 3
		.amdhsa_float_denorm_mode_16_64 3
		.amdhsa_dx10_clamp 1
		.amdhsa_ieee_mode 1
		.amdhsa_fp16_overflow 0
		.amdhsa_tg_split 0
		.amdhsa_exception_fp_ieee_invalid_op 0
		.amdhsa_exception_fp_denorm_src 0
		.amdhsa_exception_fp_ieee_div_zero 0
		.amdhsa_exception_fp_ieee_overflow 0
		.amdhsa_exception_fp_ieee_underflow 0
		.amdhsa_exception_fp_ieee_inexact 0
		.amdhsa_exception_int_div_zero 0
	.end_amdhsa_kernel
	.text
.Lfunc_end0:
	.size	bluestein_single_back_len187_dim1_sp_op_CI_CI, .Lfunc_end0-bluestein_single_back_len187_dim1_sp_op_CI_CI
                                        ; -- End function
	.section	.AMDGPU.csdata,"",@progbits
; Kernel info:
; codeLenInByte = 16920
; NumSgprs: 68
; NumVgprs: 256
; NumAgprs: 20
; TotalNumVgprs: 276
; ScratchSize: 0
; MemoryBound: 0
; FloatMode: 240
; IeeeMode: 1
; LDSByteSize: 10472 bytes/workgroup (compile time only)
; SGPRBlocks: 8
; VGPRBlocks: 34
; NumSGPRsForWavesPerEU: 68
; NumVGPRsForWavesPerEU: 276
; AccumOffset: 256
; Occupancy: 1
; WaveLimiterHint : 1
; COMPUTE_PGM_RSRC2:SCRATCH_EN: 0
; COMPUTE_PGM_RSRC2:USER_SGPR: 2
; COMPUTE_PGM_RSRC2:TRAP_HANDLER: 0
; COMPUTE_PGM_RSRC2:TGID_X_EN: 1
; COMPUTE_PGM_RSRC2:TGID_Y_EN: 0
; COMPUTE_PGM_RSRC2:TGID_Z_EN: 0
; COMPUTE_PGM_RSRC2:TIDIG_COMP_CNT: 0
; COMPUTE_PGM_RSRC3_GFX90A:ACCUM_OFFSET: 63
; COMPUTE_PGM_RSRC3_GFX90A:TG_SPLIT: 0
	.text
	.p2alignl 6, 3212836864
	.fill 256, 4, 3212836864
	.type	__hip_cuid_a263a26d1b76da06,@object ; @__hip_cuid_a263a26d1b76da06
	.section	.bss,"aw",@nobits
	.globl	__hip_cuid_a263a26d1b76da06
__hip_cuid_a263a26d1b76da06:
	.byte	0                               ; 0x0
	.size	__hip_cuid_a263a26d1b76da06, 1

	.ident	"AMD clang version 19.0.0git (https://github.com/RadeonOpenCompute/llvm-project roc-6.4.0 25133 c7fe45cf4b819c5991fe208aaa96edf142730f1d)"
	.section	".note.GNU-stack","",@progbits
	.addrsig
	.addrsig_sym __hip_cuid_a263a26d1b76da06
	.amdgpu_metadata
---
amdhsa.kernels:
  - .agpr_count:     20
    .args:
      - .actual_access:  read_only
        .address_space:  global
        .offset:         0
        .size:           8
        .value_kind:     global_buffer
      - .actual_access:  read_only
        .address_space:  global
        .offset:         8
        .size:           8
        .value_kind:     global_buffer
      - .actual_access:  read_only
        .address_space:  global
        .offset:         16
        .size:           8
        .value_kind:     global_buffer
      - .actual_access:  read_only
        .address_space:  global
        .offset:         24
        .size:           8
        .value_kind:     global_buffer
      - .actual_access:  read_only
        .address_space:  global
        .offset:         32
        .size:           8
        .value_kind:     global_buffer
      - .offset:         40
        .size:           8
        .value_kind:     by_value
      - .address_space:  global
        .offset:         48
        .size:           8
        .value_kind:     global_buffer
      - .address_space:  global
        .offset:         56
        .size:           8
        .value_kind:     global_buffer
      - .address_space:  global
        .offset:         64
        .size:           8
        .value_kind:     global_buffer
      - .address_space:  global
        .offset:         72
        .size:           8
        .value_kind:     global_buffer
      - .offset:         80
        .size:           4
        .value_kind:     by_value
      - .address_space:  global
        .offset:         88
        .size:           8
        .value_kind:     global_buffer
      - .address_space:  global
        .offset:         96
        .size:           8
        .value_kind:     global_buffer
    .group_segment_fixed_size: 10472
    .kernarg_segment_align: 8
    .kernarg_segment_size: 104
    .language:       OpenCL C
    .language_version:
      - 2
      - 0
    .max_flat_workgroup_size: 119
    .name:           bluestein_single_back_len187_dim1_sp_op_CI_CI
    .private_segment_fixed_size: 0
    .sgpr_count:     68
    .sgpr_spill_count: 0
    .symbol:         bluestein_single_back_len187_dim1_sp_op_CI_CI.kd
    .uniform_work_group_size: 1
    .uses_dynamic_stack: false
    .vgpr_count:     276
    .vgpr_spill_count: 0
    .wavefront_size: 64
amdhsa.target:   amdgcn-amd-amdhsa--gfx950
amdhsa.version:
  - 1
  - 2
...

	.end_amdgpu_metadata
